;; amdgpu-corpus repo=ROCm/rocFFT kind=compiled arch=gfx906 opt=O3
	.text
	.amdgcn_target "amdgcn-amd-amdhsa--gfx906"
	.amdhsa_code_object_version 6
	.protected	bluestein_single_fwd_len396_dim1_dp_op_CI_CI ; -- Begin function bluestein_single_fwd_len396_dim1_dp_op_CI_CI
	.globl	bluestein_single_fwd_len396_dim1_dp_op_CI_CI
	.p2align	8
	.type	bluestein_single_fwd_len396_dim1_dp_op_CI_CI,@function
bluestein_single_fwd_len396_dim1_dp_op_CI_CI: ; @bluestein_single_fwd_len396_dim1_dp_op_CI_CI
; %bb.0:
	s_mov_b64 s[46:47], s[2:3]
	s_mov_b64 s[44:45], s[0:1]
	s_load_dwordx4 s[0:3], s[4:5], 0x28
	v_mul_u32_u24_e32 v1, 0x5d2, v0
	v_add_u32_sdwa v235, s6, v1 dst_sel:DWORD dst_unused:UNUSED_PAD src0_sel:DWORD src1_sel:WORD_1
	v_mov_b32_e32 v236, 0
	s_add_u32 s44, s44, s7
	s_waitcnt lgkmcnt(0)
	v_cmp_gt_u64_e32 vcc, s[0:1], v[235:236]
	s_addc_u32 s45, s45, 0
	s_and_saveexec_b64 s[0:1], vcc
	s_cbranch_execz .LBB0_23
; %bb.1:
	s_load_dwordx2 s[12:13], s[4:5], 0x0
	s_load_dwordx2 s[6:7], s[4:5], 0x38
	v_mov_b32_e32 v2, 44
	v_mul_lo_u16_sdwa v1, v1, v2 dst_sel:DWORD dst_unused:UNUSED_PAD src0_sel:WORD_1 src1_sel:DWORD
	v_sub_u16_e32 v195, v0, v1
	v_cmp_gt_u16_e64 s[0:1], 36, v195
	v_lshlrev_b32_e32 v255, 4, v195
	s_and_saveexec_b64 s[14:15], s[0:1]
	s_cbranch_execz .LBB0_3
; %bb.2:
	s_load_dwordx2 s[8:9], s[4:5], 0x18
	s_waitcnt lgkmcnt(0)
	v_mov_b32_e32 v40, s13
	s_load_dwordx4 s[8:11], s[8:9], 0x0
	s_waitcnt lgkmcnt(0)
	v_mad_u64_u32 v[0:1], s[16:17], s10, v235, 0
	v_mad_u64_u32 v[2:3], s[16:17], s8, v195, 0
	;; [unrolled: 1-line block ×4, first 2 shown]
	v_mov_b32_e32 v1, v4
	v_lshlrev_b64 v[0:1], 4, v[0:1]
	v_mov_b32_e32 v3, v5
	v_mov_b32_e32 v6, s3
	v_lshlrev_b64 v[2:3], 4, v[2:3]
	v_add_co_u32_e32 v0, vcc, s2, v0
	v_addc_co_u32_e32 v1, vcc, v6, v1, vcc
	v_add_co_u32_e32 v16, vcc, v0, v2
	s_mul_i32 s2, s9, 0x240
	s_mul_hi_u32 s3, s8, 0x240
	v_addc_co_u32_e32 v17, vcc, v1, v3, vcc
	s_add_i32 s2, s3, s2
	s_mul_i32 s3, s8, 0x240
	v_mov_b32_e32 v0, s2
	v_add_co_u32_e32 v18, vcc, s3, v16
	v_addc_co_u32_e32 v19, vcc, v17, v0, vcc
	global_load_dwordx4 v[0:3], v[16:17], off
	global_load_dwordx4 v[4:7], v[18:19], off
	global_load_dwordx4 v[8:11], v255, s[12:13]
	global_load_dwordx4 v[12:15], v255, s[12:13] offset:576
	v_mov_b32_e32 v16, s2
	v_add_co_u32_e32 v48, vcc, s3, v18
	v_addc_co_u32_e32 v49, vcc, v19, v16, vcc
	v_add_co_u32_e32 v41, vcc, s12, v255
	s_movk_i32 s8, 0x1000
	v_addc_co_u32_e32 v40, vcc, 0, v40, vcc
	v_add_co_u32_e32 v88, vcc, s8, v41
	v_addc_co_u32_e32 v89, vcc, 0, v40, vcc
	v_mov_b32_e32 v40, s2
	v_add_co_u32_e32 v50, vcc, s3, v48
	global_load_dwordx4 v[16:19], v255, s[12:13] offset:1152
	global_load_dwordx4 v[20:23], v255, s[12:13] offset:1728
	;; [unrolled: 1-line block ×6, first 2 shown]
	v_addc_co_u32_e32 v51, vcc, v49, v40, vcc
	global_load_dwordx4 v[40:43], v[48:49], off
	global_load_dwordx4 v[44:47], v[50:51], off
	v_mov_b32_e32 v53, s2
	v_add_co_u32_e32 v52, vcc, s3, v50
	v_addc_co_u32_e32 v53, vcc, v51, v53, vcc
	v_mov_b32_e32 v54, s2
	v_add_co_u32_e32 v56, vcc, s3, v52
	v_addc_co_u32_e32 v57, vcc, v53, v54, vcc
	v_mov_b32_e32 v58, s2
	v_add_co_u32_e32 v60, vcc, s3, v56
	v_addc_co_u32_e32 v61, vcc, v57, v58, vcc
	global_load_dwordx4 v[48:51], v[52:53], off
	v_mov_b32_e32 v62, s2
	global_load_dwordx4 v[52:55], v[56:57], off
	v_add_co_u32_e32 v64, vcc, s3, v60
	global_load_dwordx4 v[56:59], v[60:61], off
	v_addc_co_u32_e32 v65, vcc, v61, v62, vcc
	v_mov_b32_e32 v66, s2
	v_add_co_u32_e32 v68, vcc, s3, v64
	v_addc_co_u32_e32 v69, vcc, v65, v66, vcc
	v_mov_b32_e32 v70, s2
	v_add_co_u32_e32 v80, vcc, s3, v68
	global_load_dwordx4 v[60:63], v[64:65], off
	v_addc_co_u32_e32 v81, vcc, v69, v70, vcc
	global_load_dwordx4 v[64:67], v[68:69], off
	v_mov_b32_e32 v82, s2
	v_add_co_u32_e32 v90, vcc, s3, v80
	global_load_dwordx4 v[68:71], v[80:81], off
	global_load_dwordx4 v[72:75], v[88:89], off offset:512
	global_load_dwordx4 v[76:79], v[88:89], off offset:1088
	v_addc_co_u32_e32 v91, vcc, v81, v82, vcc
	global_load_dwordx4 v[80:83], v[90:91], off
	global_load_dwordx4 v[84:87], v[88:89], off offset:1664
	s_waitcnt vmcnt(19)
	v_mul_f64 v[88:89], v[2:3], v[10:11]
	v_mul_f64 v[10:11], v[0:1], v[10:11]
	s_waitcnt vmcnt(18)
	v_mul_f64 v[90:91], v[6:7], v[14:15]
	v_mul_f64 v[14:15], v[4:5], v[14:15]
	v_fma_f64 v[0:1], v[0:1], v[8:9], v[88:89]
	v_fma_f64 v[2:3], v[2:3], v[8:9], -v[10:11]
	v_fma_f64 v[4:5], v[4:5], v[12:13], v[90:91]
	v_fma_f64 v[6:7], v[6:7], v[12:13], -v[14:15]
	ds_write_b128 v255, v[0:3]
	ds_write_b128 v255, v[4:7] offset:576
	s_waitcnt vmcnt(11)
	v_mul_f64 v[88:89], v[42:43], v[18:19]
	v_mul_f64 v[18:19], v[40:41], v[18:19]
	s_waitcnt vmcnt(10)
	v_mul_f64 v[12:13], v[46:47], v[22:23]
	v_mul_f64 v[2:3], v[44:45], v[22:23]
	v_fma_f64 v[8:9], v[40:41], v[16:17], v[88:89]
	v_fma_f64 v[10:11], v[42:43], v[16:17], -v[18:19]
	v_fma_f64 v[0:1], v[44:45], v[20:21], v[12:13]
	v_fma_f64 v[2:3], v[46:47], v[20:21], -v[2:3]
	s_waitcnt vmcnt(9)
	v_mul_f64 v[4:5], v[50:51], v[26:27]
	v_mul_f64 v[6:7], v[48:49], v[26:27]
	s_waitcnt vmcnt(8)
	v_mul_f64 v[12:13], v[54:55], v[30:31]
	v_mul_f64 v[14:15], v[52:53], v[30:31]
	ds_write_b128 v255, v[8:11] offset:1152
	s_waitcnt vmcnt(7)
	v_mul_f64 v[16:17], v[58:59], v[34:35]
	v_mul_f64 v[18:19], v[56:57], v[34:35]
	v_fma_f64 v[4:5], v[48:49], v[24:25], v[4:5]
	v_fma_f64 v[6:7], v[50:51], v[24:25], -v[6:7]
	v_fma_f64 v[8:9], v[52:53], v[28:29], v[12:13]
	v_fma_f64 v[10:11], v[54:55], v[28:29], -v[14:15]
	;; [unrolled: 2-line block ×3, first 2 shown]
	s_waitcnt vmcnt(6)
	v_mul_f64 v[16:17], v[62:63], v[38:39]
	v_mul_f64 v[18:19], v[60:61], v[38:39]
	s_waitcnt vmcnt(3)
	v_mul_f64 v[20:21], v[66:67], v[74:75]
	v_mul_f64 v[22:23], v[64:65], v[74:75]
	;; [unrolled: 3-line block ×4, first 2 shown]
	v_fma_f64 v[16:17], v[60:61], v[36:37], v[16:17]
	v_fma_f64 v[18:19], v[62:63], v[36:37], -v[18:19]
	v_fma_f64 v[20:21], v[64:65], v[72:73], v[20:21]
	v_fma_f64 v[22:23], v[66:67], v[72:73], -v[22:23]
	;; [unrolled: 2-line block ×4, first 2 shown]
	ds_write_b128 v255, v[0:3] offset:1728
	ds_write_b128 v255, v[4:7] offset:2304
	;; [unrolled: 1-line block ×8, first 2 shown]
.LBB0_3:
	s_or_b64 exec, exec, s[14:15]
	s_load_dwordx2 s[2:3], s[4:5], 0x20
	s_load_dwordx2 s[14:15], s[4:5], 0x8
	s_waitcnt lgkmcnt(0)
	; wave barrier
	s_waitcnt lgkmcnt(0)
                                        ; implicit-def: $vgpr0_vgpr1
                                        ; implicit-def: $vgpr4_vgpr5
                                        ; implicit-def: $vgpr8_vgpr9
                                        ; implicit-def: $vgpr20_vgpr21
                                        ; implicit-def: $vgpr32_vgpr33
                                        ; implicit-def: $vgpr40_vgpr41
                                        ; implicit-def: $vgpr36_vgpr37
                                        ; implicit-def: $vgpr28_vgpr29
                                        ; implicit-def: $vgpr24_vgpr25
                                        ; implicit-def: $vgpr16_vgpr17
                                        ; implicit-def: $vgpr12_vgpr13
	s_and_saveexec_b64 s[4:5], s[0:1]
	s_cbranch_execz .LBB0_5
; %bb.4:
	ds_read_b128 v[0:3], v255
	ds_read_b128 v[12:15], v255 offset:576
	ds_read_b128 v[16:19], v255 offset:1152
	;; [unrolled: 1-line block ×10, first 2 shown]
.LBB0_5:
	s_or_b64 exec, exec, s[4:5]
	s_waitcnt lgkmcnt(0)
	v_add_f64 v[64:65], v[12:13], -v[40:41]
	s_mov_b32 s4, 0xf8bb580b
	s_mov_b32 s5, 0xbfe14ced
	v_add_f64 v[86:87], v[42:43], v[14:15]
	v_add_f64 v[80:81], v[16:17], -v[36:37]
	s_mov_b32 s8, 0x8764f0ba
	s_mov_b32 s22, 0x8eee2c13
	;; [unrolled: 1-line block ×3, first 2 shown]
	v_mul_f64 v[52:53], v[64:65], s[4:5]
	s_mov_b32 s23, 0xbfed1bb4
	v_add_f64 v[104:105], v[38:39], v[18:19]
	v_add_f64 v[76:77], v[4:5], -v[32:33]
	v_mul_f64 v[50:51], v[80:81], s[22:23]
	s_mov_b32 s10, 0xd9c712b6
	s_mov_b32 s26, 0x43842ef
	;; [unrolled: 1-line block ×3, first 2 shown]
	v_fma_f64 v[58:59], v[86:87], s[8:9], -v[52:53]
	s_mov_b32 s27, 0xbfefac9e
	v_add_f64 v[82:83], v[14:15], -v[42:43]
	v_add_f64 v[118:119], v[6:7], v[34:35]
	v_fma_f64 v[68:69], v[104:105], s[10:11], -v[50:51]
	s_mov_b32 s20, 0x640f44db
	s_mov_b32 s21, 0xbfc2375f
	v_add_f64 v[44:45], v[40:41], v[12:13]
	v_add_f64 v[70:71], v[2:3], v[58:59]
	v_mul_f64 v[58:59], v[76:77], s[26:27]
	v_add_f64 v[88:89], v[18:19], -v[38:39]
	v_mul_f64 v[46:47], v[82:83], s[4:5]
	v_mul_f64 v[90:91], v[82:83], s[22:23]
	;; [unrolled: 1-line block ×3, first 2 shown]
	s_mov_b32 s18, 0xbb3a28a1
	s_mov_b32 s19, 0xbfe82f19
	v_add_f64 v[68:69], v[68:69], v[70:71]
	v_fma_f64 v[74:75], v[118:119], s[20:21], -v[58:59]
	v_add_f64 v[54:55], v[36:37], v[16:17]
	v_mul_f64 v[48:49], v[88:89], s[22:23]
	v_fma_f64 v[56:57], v[44:45], s[8:9], v[46:47]
	v_add_f64 v[102:103], v[6:7], -v[34:35]
	v_mul_f64 v[92:93], v[88:89], s[18:19]
	v_fma_f64 v[94:95], v[86:87], s[10:11], -v[126:127]
	v_mul_f64 v[110:111], v[80:81], s[18:19]
	v_add_f64 v[68:69], v[74:75], v[68:69]
	v_fma_f64 v[74:75], v[44:45], s[10:11], v[90:91]
	s_mov_b32 s24, 0x7f775887
	s_mov_b32 s30, 0xfd768dbf
	;; [unrolled: 1-line block ×4, first 2 shown]
	v_fma_f64 v[62:63], v[54:55], s[10:11], v[48:49]
	v_add_f64 v[66:67], v[0:1], v[56:57]
	v_add_f64 v[60:61], v[4:5], v[32:33]
	v_mul_f64 v[56:57], v[102:103], s[26:27]
	v_add_f64 v[122:123], v[10:11], -v[22:23]
	v_add_f64 v[84:85], v[8:9], -v[20:21]
	v_add_f64 v[74:75], v[0:1], v[74:75]
	v_fma_f64 v[96:97], v[54:55], s[24:25], v[92:93]
	v_add_f64 v[98:99], v[2:3], v[94:95]
	v_fma_f64 v[100:101], v[104:105], s[24:25], -v[110:111]
	v_mul_f64 v[94:95], v[102:103], s[30:31]
	v_mul_f64 v[112:113], v[76:77], s[30:31]
	s_mov_b32 s28, 0x9bcd5057
	s_mov_b32 s29, 0xbfeeb42a
	s_mov_b32 s39, 0x3fefac9e
	s_mov_b32 s38, s26
	v_add_f64 v[72:73], v[62:63], v[66:67]
	v_fma_f64 v[70:71], v[60:61], s[20:21], v[56:57]
	v_add_f64 v[78:79], v[8:9], v[20:21]
	v_mul_f64 v[62:63], v[122:123], s[18:19]
	v_add_f64 v[124:125], v[10:11], v[22:23]
	v_mul_f64 v[66:67], v[84:85], s[18:19]
	v_add_f64 v[128:129], v[26:27], -v[30:31]
	v_add_f64 v[108:109], v[24:25], -v[28:29]
	v_add_f64 v[74:75], v[96:97], v[74:75]
	v_add_f64 v[106:107], v[100:101], v[98:99]
	v_fma_f64 v[120:121], v[60:61], s[28:29], v[94:95]
	v_fma_f64 v[134:135], v[118:119], s[28:29], -v[112:113]
	v_mul_f64 v[100:101], v[122:123], s[38:39]
	v_mul_f64 v[116:117], v[84:85], s[38:39]
	s_mov_b32 s35, 0xbfd207e7
	s_mov_b32 s34, s30
	;; [unrolled: 1-line block ×4, first 2 shown]
	v_add_f64 v[70:71], v[70:71], v[72:73]
	v_fma_f64 v[72:73], v[78:79], s[24:25], v[62:63]
	v_fma_f64 v[132:133], v[124:125], s[24:25], -v[66:67]
	v_add_f64 v[114:115], v[28:29], v[24:25]
	v_mul_f64 v[96:97], v[128:129], s[34:35]
	v_add_f64 v[130:131], v[30:31], v[26:27]
	v_mul_f64 v[98:99], v[108:109], s[34:35]
	v_add_f64 v[74:75], v[120:121], v[74:75]
	v_add_f64 v[134:135], v[134:135], v[106:107]
	v_fma_f64 v[136:137], v[78:79], s[20:21], v[100:101]
	v_fma_f64 v[138:139], v[124:125], s[20:21], -v[116:117]
	v_mul_f64 v[106:107], v[128:129], s[36:37]
	v_mul_f64 v[120:121], v[108:109], s[36:37]
	v_add_f64 v[70:71], v[72:73], v[70:71]
	v_add_f64 v[68:69], v[132:133], v[68:69]
	v_fma_f64 v[72:73], v[114:115], s[28:29], v[96:97]
	v_fma_f64 v[132:133], v[130:131], s[28:29], -v[98:99]
	v_add_f64 v[136:137], v[136:137], v[74:75]
	v_add_f64 v[134:135], v[138:139], v[134:135]
	v_fma_f64 v[138:139], v[114:115], s[8:9], v[106:107]
	v_fma_f64 v[140:141], v[130:131], s[8:9], -v[120:121]
	v_mul_lo_u16_e32 v144, 11, v195
	v_add_f64 v[72:73], v[72:73], v[70:71]
	v_add_f64 v[74:75], v[132:133], v[68:69]
	; wave barrier
	v_add_f64 v[68:69], v[138:139], v[136:137]
	v_add_f64 v[70:71], v[140:141], v[134:135]
	s_and_saveexec_b64 s[16:17], s[0:1]
	s_cbranch_execz .LBB0_7
; %bb.6:
	v_mul_f64 v[132:133], v[86:87], s[28:29]
	v_mul_f64 v[134:135], v[82:83], s[34:35]
	;; [unrolled: 1-line block ×5, first 2 shown]
	s_mov_b32 s43, 0x3fe82f19
	s_mov_b32 s42, s18
	v_mul_f64 v[142:143], v[124:125], s[10:11]
	v_fma_f64 v[138:139], v[64:65], s[30:31], v[132:133]
	v_fma_f64 v[181:182], v[44:45], s[28:29], v[134:135]
	;; [unrolled: 1-line block ×3, first 2 shown]
	v_mul_f64 v[187:188], v[102:103], s[18:19]
	v_fma_f64 v[189:190], v[54:55], s[8:9], v[179:180]
	v_fma_f64 v[191:192], v[76:77], s[42:43], v[183:184]
	;; [unrolled: 1-line block ×3, first 2 shown]
	s_mov_b32 s41, 0x3fed1bb4
	v_add_f64 v[138:139], v[2:3], v[138:139]
	v_add_f64 v[181:182], v[0:1], v[181:182]
	s_mov_b32 s40, s22
	v_mul_f64 v[140:141], v[130:131], s[20:21]
	v_fma_f64 v[193:194], v[60:61], s[24:25], v[187:188]
	v_fma_f64 v[136:137], v[80:81], s[36:37], v[136:137]
	v_add_f64 v[132:133], v[2:3], v[132:133]
	v_mul_f64 v[196:197], v[128:129], s[26:27]
	v_add_f64 v[138:139], v[185:186], v[138:139]
	v_mul_f64 v[185:186], v[122:123], s[40:41]
	v_add_f64 v[181:182], v[189:190], v[181:182]
	v_fma_f64 v[189:190], v[84:85], s[22:23], v[142:143]
	v_fma_f64 v[183:184], v[76:77], s[18:19], v[183:184]
	v_fma_f64 v[200:201], v[44:45], s[28:29], -v[134:135]
	v_add_f64 v[132:133], v[136:137], v[132:133]
	v_fma_f64 v[136:137], v[108:109], s[38:39], v[140:141]
	v_add_f64 v[138:139], v[191:192], v[138:139]
	v_fma_f64 v[198:199], v[78:79], s[10:11], v[185:186]
	;; [unrolled: 2-line block ×3, first 2 shown]
	v_fma_f64 v[142:143], v[84:85], s[40:41], v[142:143]
	v_mul_f64 v[202:203], v[118:119], s[8:9]
	v_add_f64 v[183:184], v[183:184], v[132:133]
	v_mul_f64 v[208:209], v[124:125], s[28:29]
	v_add_f64 v[138:139], v[189:190], v[138:139]
	v_fma_f64 v[140:141], v[108:109], s[26:27], v[140:141]
	v_add_f64 v[181:182], v[198:199], v[181:182]
	v_fma_f64 v[185:186], v[78:79], s[10:11], -v[185:186]
	v_add_f64 v[14:15], v[2:3], v[14:15]
	v_fma_f64 v[210:211], v[76:77], s[36:37], v[202:203]
	v_add_f64 v[142:143], v[142:143], v[183:184]
	v_fma_f64 v[183:184], v[60:61], s[24:25], -v[187:188]
	v_add_f64 v[134:135], v[136:137], v[138:139]
	v_mul_f64 v[138:139], v[86:87], s[24:25]
	v_fma_f64 v[136:137], v[54:55], s[8:9], -v[179:180]
	v_add_f64 v[179:180], v[0:1], v[200:201]
	v_add_f64 v[132:133], v[193:194], v[181:182]
	v_mul_f64 v[181:182], v[82:83], s[18:19]
	v_mul_f64 v[187:188], v[104:105], s[20:21]
	v_fma_f64 v[214:215], v[84:85], s[30:31], v[208:209]
	v_fma_f64 v[202:203], v[76:77], s[4:5], v[202:203]
	;; [unrolled: 1-line block ×4, first 2 shown]
	v_add_f64 v[136:137], v[136:137], v[179:180]
	v_fma_f64 v[179:180], v[114:115], s[20:21], -v[196:197]
	v_mul_f64 v[196:197], v[88:89], s[38:39]
	v_fma_f64 v[200:201], v[44:45], s[24:25], v[181:182]
	v_fma_f64 v[204:205], v[80:81], s[26:27], v[187:188]
	;; [unrolled: 1-line block ×3, first 2 shown]
	v_add_f64 v[193:194], v[2:3], v[193:194]
	v_add_f64 v[138:139], v[2:3], v[138:139]
	;; [unrolled: 1-line block ×3, first 2 shown]
	v_mul_f64 v[183:184], v[102:103], s[4:5]
	v_fma_f64 v[206:207], v[54:55], s[20:21], v[196:197]
	v_add_f64 v[200:201], v[0:1], v[200:201]
	v_add_f64 v[12:13], v[0:1], v[12:13]
	;; [unrolled: 1-line block ×7, first 2 shown]
	v_fma_f64 v[142:143], v[84:85], s[34:35], v[208:209]
	v_add_f64 v[200:201], v[206:207], v[200:201]
	v_mul_f64 v[206:207], v[130:131], s[10:11]
	v_mul_f64 v[204:205], v[122:123], s[34:35]
	v_add_f64 v[193:194], v[210:211], v[193:194]
	v_add_f64 v[185:186], v[202:203], v[187:188]
	v_fma_f64 v[212:213], v[60:61], s[8:9], v[183:184]
	v_add_f64 v[136:137], v[179:180], v[136:137]
	v_mul_f64 v[210:211], v[128:129], s[40:41]
	v_add_f64 v[12:13], v[16:17], v[12:13]
	v_fma_f64 v[140:141], v[108:109], s[22:23], v[206:207]
	v_fma_f64 v[179:180], v[108:109], s[40:41], v[206:207]
	v_add_f64 v[187:188], v[214:215], v[193:194]
	v_add_f64 v[185:186], v[142:143], v[185:186]
	v_fma_f64 v[216:217], v[78:79], s[28:29], v[204:205]
	v_add_f64 v[200:201], v[212:213], v[200:201]
	v_mul_f64 v[145:146], v[44:45], s[8:9]
	v_mul_f64 v[149:150], v[44:45], s[10:11]
	v_fma_f64 v[181:182], v[44:45], s[24:25], -v[181:182]
	v_mul_f64 v[88:89], v[88:89], s[30:31]
	v_add_f64 v[142:143], v[140:141], v[187:188]
	v_mul_f64 v[187:188], v[82:83], s[26:27]
	v_add_f64 v[82:83], v[179:180], v[185:186]
	v_mul_f64 v[147:148], v[86:87], s[8:9]
	v_mul_f64 v[151:152], v[86:87], s[10:11]
	v_fma_f64 v[193:194], v[114:115], s[10:11], v[210:211]
	v_add_f64 v[200:201], v[216:217], v[200:201]
	v_mul_f64 v[86:87], v[86:87], s[20:21]
	v_add_f64 v[6:7], v[6:7], v[14:15]
	v_fma_f64 v[185:186], v[44:45], s[20:21], v[187:188]
	v_fma_f64 v[44:45], v[44:45], s[20:21], -v[187:188]
	v_add_f64 v[4:5], v[4:5], v[12:13]
	v_mul_f64 v[102:103], v[102:103], s[40:41]
	v_fma_f64 v[18:19], v[54:55], s[28:29], -v[88:89]
	v_mul_f64 v[155:156], v[104:105], s[10:11]
	v_mul_f64 v[159:160], v[104:105], s[24:25]
	;; [unrolled: 1-line block ×3, first 2 shown]
	v_add_f64 v[140:141], v[193:194], v[200:201]
	v_add_f64 v[44:45], v[0:1], v[44:45]
	v_fma_f64 v[193:194], v[64:65], s[38:39], v[86:87]
	v_fma_f64 v[64:65], v[64:65], s[26:27], v[86:87]
	v_add_f64 v[6:7], v[10:11], v[6:7]
	v_add_f64 v[4:5], v[8:9], v[4:5]
	v_fma_f64 v[14:15], v[60:61], s[10:11], -v[102:103]
	v_mul_f64 v[163:164], v[118:119], s[20:21]
	v_mul_f64 v[167:168], v[118:119], s[28:29]
	v_add_f64 v[18:19], v[18:19], v[44:45]
	v_fma_f64 v[196:197], v[54:55], s[20:21], -v[196:197]
	v_add_f64 v[181:182], v[0:1], v[181:182]
	v_mul_f64 v[118:119], v[118:119], s[10:11]
	v_fma_f64 v[179:180], v[80:81], s[34:35], v[104:105]
	v_fma_f64 v[80:81], v[80:81], s[30:31], v[104:105]
	v_add_f64 v[64:65], v[2:3], v[64:65]
	v_add_f64 v[126:127], v[126:127], v[151:152]
	;; [unrolled: 1-line block ×4, first 2 shown]
	v_mul_f64 v[153:154], v[54:55], s[10:11]
	v_add_f64 v[10:11], v[14:15], v[18:19]
	v_add_f64 v[18:19], v[52:53], v[147:148]
	v_add_f64 v[24:25], v[145:146], -v[46:47]
	v_mul_f64 v[157:158], v[54:55], s[24:25]
	v_add_f64 v[26:27], v[149:150], -v[90:91]
	v_mul_f64 v[171:172], v[124:125], s[24:25]
	v_mul_f64 v[175:176], v[124:125], s[20:21]
	v_add_f64 v[181:182], v[196:197], v[181:182]
	v_mul_f64 v[124:125], v[124:125], s[8:9]
	v_fma_f64 v[196:197], v[76:77], s[22:23], v[118:119]
	v_fma_f64 v[76:77], v[76:77], s[40:41], v[118:119]
	v_add_f64 v[64:65], v[80:81], v[64:65]
	v_add_f64 v[80:81], v[110:111], v[159:160]
	;; [unrolled: 1-line block ×5, first 2 shown]
	v_mul_f64 v[161:162], v[60:61], s[20:21]
	v_add_f64 v[193:194], v[2:3], v[193:194]
	v_add_f64 v[50:51], v[50:51], v[155:156]
	;; [unrolled: 1-line block ×3, first 2 shown]
	v_add_f64 v[18:19], v[153:154], -v[48:49]
	v_add_f64 v[24:25], v[0:1], v[24:25]
	v_mul_f64 v[165:166], v[60:61], s[28:29]
	v_add_f64 v[185:186], v[0:1], v[185:186]
	v_add_f64 v[46:47], v[157:158], -v[92:93]
	v_add_f64 v[0:1], v[0:1], v[26:27]
	v_fma_f64 v[183:184], v[60:61], s[8:9], -v[183:184]
	v_fma_f64 v[200:201], v[54:55], s[28:29], v[88:89]
	v_fma_f64 v[16:17], v[84:85], s[4:5], v[124:125]
	v_add_f64 v[54:55], v[76:77], v[64:65]
	v_add_f64 v[64:65], v[112:113], v[167:168]
	;; [unrolled: 1-line block ×5, first 2 shown]
	v_mul_f64 v[169:170], v[78:79], s[24:25]
	v_add_f64 v[28:29], v[58:59], v[163:164]
	v_add_f64 v[2:3], v[50:51], v[2:3]
	v_add_f64 v[30:31], v[161:162], -v[56:57]
	v_add_f64 v[18:19], v[18:19], v[24:25]
	v_mul_f64 v[173:174], v[78:79], s[20:21]
	v_add_f64 v[26:27], v[165:166], -v[94:95]
	v_add_f64 v[0:1], v[46:47], v[0:1]
	v_mul_f64 v[122:123], v[122:123], s[4:5]
	v_mul_f64 v[191:192], v[130:131], s[28:29]
	;; [unrolled: 1-line block ×3, first 2 shown]
	v_add_f64 v[179:180], v[179:180], v[193:194]
	v_fma_f64 v[193:194], v[78:79], s[28:29], -v[204:205]
	v_add_f64 v[181:182], v[183:184], v[181:182]
	v_mul_f64 v[130:131], v[130:131], s[24:25]
	v_fma_f64 v[202:203], v[60:61], s[10:11], v[102:103]
	v_add_f64 v[185:186], v[200:201], v[185:186]
	v_add_f64 v[16:17], v[16:17], v[54:55]
	;; [unrolled: 1-line block ×6, first 2 shown]
	v_mul_f64 v[177:178], v[114:115], s[28:29]
	v_add_f64 v[22:23], v[66:67], v[171:172]
	v_add_f64 v[2:3], v[28:29], v[2:3]
	v_add_f64 v[24:25], v[169:170], -v[62:63]
	v_add_f64 v[18:19], v[30:31], v[18:19]
	v_mul_f64 v[189:190], v[114:115], s[8:9]
	v_add_f64 v[20:21], v[173:174], -v[100:101]
	v_add_f64 v[0:1], v[26:27], v[0:1]
	v_mul_f64 v[86:87], v[128:129], s[18:19]
	v_fma_f64 v[8:9], v[78:79], s[8:9], -v[122:123]
	v_fma_f64 v[183:184], v[84:85], s[36:37], v[124:125]
	v_add_f64 v[179:180], v[196:197], v[179:180]
	v_add_f64 v[128:129], v[193:194], v[181:182]
	v_fma_f64 v[193:194], v[78:79], s[8:9], v[122:123]
	v_add_f64 v[185:186], v[202:203], v[185:186]
	v_fma_f64 v[12:13], v[108:109], s[18:19], v[130:131]
	v_add_f64 v[14:15], v[120:121], v[198:199]
	v_add_f64 v[44:45], v[44:45], v[54:55]
	v_add_f64 v[32:33], v[38:39], v[6:7]
	v_add_f64 v[4:5], v[36:37], v[4:5]
	v_add_f64 v[28:29], v[98:99], v[191:192]
	v_add_f64 v[22:23], v[22:23], v[2:3]
	v_add_f64 v[30:31], v[177:178], -v[96:97]
	v_add_f64 v[18:19], v[24:25], v[18:19]
	v_add_f64 v[26:27], v[189:190], -v[106:107]
	v_add_f64 v[0:1], v[20:21], v[0:1]
	v_fma_f64 v[60:61], v[114:115], s[24:25], -v[86:87]
	v_add_f64 v[20:21], v[8:9], v[10:11]
	v_fma_f64 v[196:197], v[114:115], s[10:11], -v[210:211]
	v_fma_f64 v[181:182], v[108:109], s[42:43], v[130:131]
	v_add_f64 v[179:180], v[183:184], v[179:180]
	v_fma_f64 v[104:105], v[114:115], s[24:25], v[86:87]
	v_add_f64 v[151:152], v[193:194], v[185:186]
	v_add_f64 v[2:3], v[12:13], v[16:17]
	;; [unrolled: 1-line block ×10, first 2 shown]
	v_lshlrev_b32_e32 v20, 4, v144
	v_add_f64 v[18:19], v[181:182], v[179:180]
	v_add_f64 v[16:17], v[104:105], v[151:152]
	ds_write_b128 v20, v[12:15]
	ds_write_b128 v20, v[8:11] offset:16
	ds_write_b128 v20, v[4:7] offset:32
	;; [unrolled: 1-line block ×10, first 2 shown]
.LBB0_7:
	s_or_b64 exec, exec, s[16:17]
	s_load_dwordx4 s[8:11], s[2:3], 0x0
	s_movk_i32 s2, 0x75
	v_mul_lo_u16_sdwa v0, v195, s2 dst_sel:DWORD dst_unused:UNUSED_PAD src0_sel:BYTE_0 src1_sel:DWORD
	v_sub_u16_sdwa v1, v195, v0 dst_sel:DWORD dst_unused:UNUSED_PAD src0_sel:DWORD src1_sel:BYTE_1
	v_lshrrev_b16_e32 v1, 1, v1
	v_and_b32_e32 v1, 0x7f, v1
	v_add_u16_sdwa v0, v1, v0 dst_sel:DWORD dst_unused:UNUSED_PAD src0_sel:DWORD src1_sel:BYTE_1
	v_lshrrev_b16_e32 v124, 3, v0
	v_mul_lo_u16_e32 v0, 11, v124
	v_sub_u16_e32 v0, v195, v0
	v_and_b32_e32 v125, 0xff, v0
	v_lshlrev_b32_e32 v32, 7, v125
	s_waitcnt lgkmcnt(0)
	; wave barrier
	s_waitcnt lgkmcnt(0)
	global_load_dwordx4 v[12:15], v32, s[14:15]
	global_load_dwordx4 v[8:11], v32, s[14:15] offset:16
	global_load_dwordx4 v[4:7], v32, s[14:15] offset:32
	global_load_dwordx4 v[0:3], v32, s[14:15] offset:48
	global_load_dwordx4 v[20:23], v32, s[14:15] offset:64
	global_load_dwordx4 v[16:19], v32, s[14:15] offset:80
	global_load_dwordx4 v[24:27], v32, s[14:15] offset:96
	global_load_dwordx4 v[28:31], v32, s[14:15] offset:112
	ds_read_b128 v[32:35], v255
	ds_read_b128 v[36:39], v255 offset:704
	ds_read_b128 v[40:43], v255 offset:1408
	;; [unrolled: 1-line block ×8, first 2 shown]
	s_mov_b32 s26, 0xa2cf5039
	s_mov_b32 s17, 0x3fe491b7
	;; [unrolled: 1-line block ×16, first 2 shown]
	s_waitcnt lgkmcnt(0)
	; wave barrier
	s_waitcnt vmcnt(7) lgkmcnt(0)
	v_mul_f64 v[76:77], v[38:39], v[14:15]
	v_mul_f64 v[78:79], v[36:37], v[14:15]
	s_waitcnt vmcnt(6)
	v_mul_f64 v[80:81], v[42:43], v[10:11]
	v_mul_f64 v[82:83], v[40:41], v[10:11]
	s_waitcnt vmcnt(5)
	;; [unrolled: 3-line block ×3, first 2 shown]
	v_mul_f64 v[88:89], v[50:51], v[2:3]
	s_waitcnt vmcnt(0)
	v_mul_f64 v[104:105], v[66:67], v[30:31]
	v_mul_f64 v[106:107], v[64:65], v[30:31]
	;; [unrolled: 1-line block ×9, first 2 shown]
	v_fma_f64 v[36:37], v[36:37], v[12:13], -v[76:77]
	v_fma_f64 v[38:39], v[38:39], v[12:13], v[78:79]
	v_fma_f64 v[64:65], v[64:65], v[28:29], -v[104:105]
	v_fma_f64 v[66:67], v[66:67], v[28:29], v[106:107]
	;; [unrolled: 2-line block ×8, first 2 shown]
	v_add_f64 v[80:81], v[36:37], v[64:65]
	v_add_f64 v[82:83], v[38:39], v[66:67]
	v_add_f64 v[64:65], v[36:37], -v[64:65]
	v_add_f64 v[66:67], v[38:39], -v[66:67]
	v_add_f64 v[76:77], v[40:41], v[60:61]
	v_add_f64 v[78:79], v[42:43], v[62:63]
	;; [unrolled: 1-line block ×4, first 2 shown]
	v_add_f64 v[36:37], v[40:41], -v[60:61]
	v_add_f64 v[38:39], v[42:43], -v[62:63]
	;; [unrolled: 1-line block ×5, first 2 shown]
	v_add_f64 v[46:47], v[48:49], v[52:53]
	v_add_f64 v[56:57], v[50:51], v[54:55]
	v_add_f64 v[58:59], v[50:51], -v[54:55]
	v_mul_f64 v[60:61], v[64:65], s[16:17]
	v_mul_f64 v[62:63], v[66:67], s[16:17]
	v_fma_f64 v[90:91], v[82:83], s[26:27], v[34:35]
	s_mov_b32 s17, 0xbfe491b7
	v_fma_f64 v[88:89], v[80:81], s[26:27], v[32:33]
	v_fma_f64 v[92:93], v[46:47], s[26:27], v[32:33]
	;; [unrolled: 1-line block ×3, first 2 shown]
	v_mul_f64 v[116:117], v[44:45], s[16:17]
	v_mul_f64 v[118:119], v[58:59], s[16:17]
	v_fma_f64 v[60:61], v[36:37], s[18:19], v[60:61]
	v_fma_f64 v[62:63], v[38:39], s[18:19], v[62:63]
	;; [unrolled: 1-line block ×10, first 2 shown]
	v_fma_f64 v[90:91], v[86:87], -0.5, v[90:91]
	v_add_f64 v[96:97], v[44:45], v[64:65]
	v_add_f64 v[98:99], v[58:59], v[66:67]
	;; [unrolled: 1-line block ×4, first 2 shown]
	v_mul_f64 v[108:109], v[44:45], s[18:19]
	v_mul_f64 v[110:111], v[58:59], s[18:19]
	v_fma_f64 v[112:113], v[76:77], s[26:27], v[32:33]
	v_fma_f64 v[114:115], v[78:79], s[26:27], v[34:35]
	v_fma_f64 v[88:89], v[84:85], -0.5, v[88:89]
	v_fma_f64 v[92:93], v[84:85], -0.5, v[92:93]
	;; [unrolled: 1-line block ×3, first 2 shown]
	v_fma_f64 v[116:117], v[40:41], s[24:25], v[116:117]
	v_fma_f64 v[118:119], v[42:43], s[24:25], v[118:119]
	;; [unrolled: 1-line block ×5, first 2 shown]
	v_add_f64 v[98:99], v[98:99], -v[38:39]
	v_add_f64 v[120:121], v[46:47], v[104:105]
	v_add_f64 v[122:123], v[56:57], v[106:107]
	v_fma_f64 v[108:109], v[36:37], s[16:17], -v[108:109]
	v_fma_f64 v[110:111], v[38:39], s[16:17], -v[110:111]
	v_fma_f64 v[60:61], v[46:47], s[20:21], v[88:89]
	v_fma_f64 v[76:77], v[76:77], s[20:21], v[92:93]
	v_fma_f64 v[78:79], v[78:79], s[20:21], v[94:95]
	v_fma_f64 v[92:93], v[38:39], s[4:5], v[118:119]
	v_fma_f64 v[94:95], v[36:37], s[4:5], v[116:117]
	v_add_f64 v[38:39], v[62:63], -v[44:45]
	v_fma_f64 v[46:47], v[46:47], s[22:23], v[112:113]
	v_fma_f64 v[56:57], v[56:57], s[22:23], v[114:115]
	v_add_f64 v[88:89], v[84:85], v[104:105]
	v_add_f64 v[90:91], v[86:87], v[106:107]
	v_add_f64 v[96:97], v[96:97], -v[36:37]
	v_add_f64 v[36:37], v[58:59], v[60:61]
	v_fma_f64 v[60:61], v[40:41], s[2:3], v[108:109]
	v_fma_f64 v[62:63], v[42:43], s[2:3], v[110:111]
	v_add_f64 v[42:43], v[78:79], -v[94:95]
	v_fma_f64 v[78:79], v[44:45], 2.0, v[38:39]
	v_fma_f64 v[44:45], v[84:85], -0.5, v[46:47]
	v_fma_f64 v[46:47], v[86:87], -0.5, v[56:57]
	v_add_f64 v[100:101], v[32:33], v[84:85]
	v_add_f64 v[102:103], v[34:35], v[86:87]
	;; [unrolled: 1-line block ×4, first 2 shown]
	v_fma_f64 v[64:65], v[64:65], s[4:5], v[60:61]
	v_fma_f64 v[60:61], v[66:67], s[4:5], v[62:63]
	v_fma_f64 v[62:63], v[80:81], s[20:21], v[44:45]
	v_fma_f64 v[66:67], v[82:83], s[20:21], v[46:47]
	v_add_f64 v[40:41], v[92:93], v[76:77]
	v_fma_f64 v[76:77], v[58:59], -2.0, v[36:37]
	v_fma_f64 v[56:57], v[120:121], -0.5, v[100:101]
	;; [unrolled: 1-line block ×3, first 2 shown]
	v_add_f64 v[84:85], v[52:53], v[48:49]
	v_add_f64 v[86:87], v[54:55], v[50:51]
	;; [unrolled: 1-line block ×3, first 2 shown]
	v_add_f64 v[50:51], v[66:67], -v[64:65]
	v_mul_f64 v[80:81], v[96:97], s[2:3]
	v_mul_f64 v[82:83], v[98:99], s[2:3]
	v_fma_f64 v[44:45], v[98:99], s[2:3], v[56:57]
	v_fma_f64 v[46:47], v[96:97], s[24:25], v[58:59]
	v_add_f64 v[32:33], v[32:33], v[84:85]
	v_add_f64 v[34:35], v[34:35], v[86:87]
	v_fma_f64 v[60:61], v[60:61], -2.0, v[48:49]
	v_fma_f64 v[62:63], v[64:65], 2.0, v[50:51]
	v_mul_u32_u24_e32 v64, 0x63, v124
	v_fma_f64 v[52:53], v[92:93], -2.0, v[40:41]
	v_fma_f64 v[56:57], v[82:83], -2.0, v[44:45]
	v_fma_f64 v[58:59], v[80:81], 2.0, v[46:47]
	v_fma_f64 v[54:55], v[94:95], 2.0, v[42:43]
	v_add_lshl_u32 v196, v64, v125, 4
	ds_write_b128 v196, v[32:35]
	ds_write_b128 v196, v[36:39] offset:176
	ds_write_b128 v196, v[40:43] offset:352
	;; [unrolled: 1-line block ×8, first 2 shown]
	s_waitcnt lgkmcnt(0)
	; wave barrier
	s_waitcnt lgkmcnt(0)
	ds_read_b128 v[84:87], v255
	ds_read_b128 v[80:83], v255 offset:704
	ds_read_b128 v[100:103], v255 offset:1584
	;; [unrolled: 1-line block ×7, first 2 shown]
	v_cmp_gt_u16_e64 s[2:3], 11, v195
                                        ; implicit-def: $vgpr112_vgpr113
	s_and_saveexec_b64 s[4:5], s[2:3]
	s_cbranch_execz .LBB0_9
; %bb.8:
	ds_read_b128 v[76:79], v255 offset:1408
	ds_read_b128 v[68:71], v255 offset:2992
	;; [unrolled: 1-line block ×4, first 2 shown]
.LBB0_9:
	s_or_b64 exec, exec, s[4:5]
	v_mad_u64_u32 v[32:33], s[4:5], v195, 48, s[14:15]
	v_add_u32_e32 v34, 0x58, v195
	global_load_dwordx4 v[44:47], v[32:33], off offset:1424
	global_load_dwordx4 v[48:51], v[32:33], off offset:1408
	;; [unrolled: 1-line block ×6, first 2 shown]
	v_add_u32_e32 v32, -11, v195
	v_cndmask_b32_e64 v32, v32, v34, s[2:3]
	v_mul_hi_i32_i24_e32 v33, 48, v32
	v_mul_i32_i24_e32 v32, 48, v32
	v_mov_b32_e32 v34, s15
	v_add_co_u32_e32 v116, vcc, s14, v32
	v_addc_co_u32_e32 v117, vcc, v34, v33, vcc
	global_load_dwordx4 v[40:43], v[116:117], off offset:1408
	global_load_dwordx4 v[36:39], v[116:117], off offset:1424
	;; [unrolled: 1-line block ×3, first 2 shown]
	s_waitcnt vmcnt(8) lgkmcnt(3)
	v_mul_f64 v[120:121], v[106:107], v[46:47]
	s_waitcnt vmcnt(7)
	v_mul_f64 v[116:117], v[102:103], v[50:51]
	v_mul_f64 v[118:119], v[100:101], v[50:51]
	;; [unrolled: 1-line block ×3, first 2 shown]
	s_waitcnt vmcnt(4) lgkmcnt(1)
	v_mul_f64 v[124:125], v[110:111], v[62:63]
	v_mul_f64 v[126:127], v[108:109], v[62:63]
	s_waitcnt vmcnt(3)
	v_mul_f64 v[128:129], v[90:91], v[66:67]
	v_mul_f64 v[130:131], v[88:89], v[66:67]
	;; [unrolled: 1-line block ×4, first 2 shown]
	s_waitcnt lgkmcnt(0)
	v_mul_f64 v[136:137], v[98:99], v[54:55]
	v_mul_f64 v[138:139], v[96:97], v[54:55]
	v_fma_f64 v[100:101], v[100:101], v[48:49], -v[116:117]
	s_waitcnt vmcnt(2)
	v_mul_f64 v[140:141], v[70:71], v[42:43]
	v_mul_f64 v[142:143], v[68:69], v[42:43]
	s_waitcnt vmcnt(1)
	v_mul_f64 v[145:146], v[74:75], v[38:39]
	v_mul_f64 v[147:148], v[72:73], v[38:39]
	;; [unrolled: 3-line block ×3, first 2 shown]
	v_fma_f64 v[102:103], v[102:103], v[48:49], v[118:119]
	v_fma_f64 v[104:105], v[104:105], v[44:45], -v[120:121]
	v_fma_f64 v[106:107], v[106:107], v[44:45], v[122:123]
	v_fma_f64 v[108:109], v[108:109], v[60:61], -v[124:125]
	;; [unrolled: 2-line block ×8, first 2 shown]
	v_fma_f64 v[114:115], v[114:115], v[32:33], v[151:152]
	v_add_f64 v[104:105], v[84:85], -v[104:105]
	v_add_f64 v[106:107], v[86:87], -v[106:107]
	v_add_f64 v[108:109], v[100:101], -v[108:109]
	v_add_f64 v[110:111], v[102:103], -v[110:111]
	v_add_f64 v[120:121], v[80:81], -v[92:93]
	v_add_f64 v[122:123], v[82:83], -v[94:95]
	v_add_f64 v[92:93], v[88:89], -v[96:97]
	v_add_f64 v[94:95], v[90:91], -v[98:99]
	v_add_f64 v[72:73], v[76:77], -v[72:73]
	v_add_f64 v[74:75], v[78:79], -v[74:75]
	v_add_f64 v[96:97], v[68:69], -v[112:113]
	v_add_f64 v[98:99], v[70:71], -v[114:115]
	v_fma_f64 v[112:113], v[84:85], 2.0, -v[104:105]
	v_fma_f64 v[114:115], v[86:87], 2.0, -v[106:107]
	;; [unrolled: 1-line block ×12, first 2 shown]
	v_add_f64 v[100:101], v[104:105], -v[110:111]
	v_add_f64 v[102:103], v[106:107], v[108:109]
	v_add_f64 v[88:89], v[120:121], -v[94:95]
	v_add_f64 v[90:91], v[122:123], v[92:93]
	;; [unrolled: 2-line block ×3, first 2 shown]
	v_add_f64 v[108:109], v[112:113], -v[84:85]
	v_add_f64 v[110:111], v[114:115], -v[86:87]
	;; [unrolled: 1-line block ×6, first 2 shown]
	v_fma_f64 v[116:117], v[104:105], 2.0, -v[100:101]
	v_fma_f64 v[118:119], v[106:107], 2.0, -v[102:103]
	;; [unrolled: 1-line block ×12, first 2 shown]
	ds_write_b128 v255, v[100:103] offset:4752
	ds_write_b128 v255, v[116:119] offset:1584
	;; [unrolled: 1-line block ×5, first 2 shown]
	ds_write_b128 v255, v[120:123]
	ds_write_b128 v255, v[112:115] offset:704
	ds_write_b128 v255, v[88:91] offset:5456
	s_and_saveexec_b64 s[4:5], s[2:3]
	s_cbranch_execz .LBB0_11
; %bb.10:
	ds_write_b128 v255, v[96:99] offset:1408
	ds_write_b128 v255, v[84:87] offset:2992
	;; [unrolled: 1-line block ×4, first 2 shown]
.LBB0_11:
	s_or_b64 exec, exec, s[4:5]
	s_waitcnt lgkmcnt(0)
	; wave barrier
	s_waitcnt lgkmcnt(0)
	s_and_saveexec_b64 s[14:15], s[0:1]
	s_cbranch_execz .LBB0_13
; %bb.12:
	v_mov_b32_e32 v72, s13
	v_add_co_u32_e32 v140, vcc, s12, v255
	v_addc_co_u32_e32 v144, vcc, 0, v72, vcc
	v_add_co_u32_e32 v157, vcc, 0x18c0, v140
	v_addc_co_u32_e32 v158, vcc, 0, v144, vcc
	global_load_dwordx4 v[72:75], v[157:158], off offset:576
	global_load_dwordx4 v[76:79], v[157:158], off offset:1152
	;; [unrolled: 1-line block ×6, first 2 shown]
	s_movk_i32 s4, 0x2000
	v_add_co_u32_e32 v153, vcc, 0x1000, v140
	v_add_co_u32_e64 v149, s[4:5], s4, v140
	v_addc_co_u32_e64 v150, s[4:5], 0, v144, s[4:5]
	v_addc_co_u32_e32 v154, vcc, 0, v144, vcc
	global_load_dwordx4 v[140:143], v[149:150], off offset:2752
	global_load_dwordx4 v[145:148], v[149:150], off offset:3328
	s_nop 0
	global_load_dwordx4 v[149:152], v[149:150], off offset:3904
	s_nop 0
	;; [unrolled: 2-line block ×3, first 2 shown]
	global_load_dwordx4 v[157:160], v[157:158], off offset:4032
	ds_read_b128 v[161:164], v255
	ds_read_b128 v[165:168], v255 offset:576
	ds_read_b128 v[169:172], v255 offset:1152
	ds_read_b128 v[173:176], v255 offset:1728
	ds_read_b128 v[177:180], v255 offset:2304
	ds_read_b128 v[181:184], v255 offset:2880
	ds_read_b128 v[185:188], v255 offset:3456
	ds_read_b128 v[189:192], v255 offset:4032
	ds_read_b128 v[197:200], v255 offset:4608
	ds_read_b128 v[201:204], v255 offset:5184
	ds_read_b128 v[205:208], v255 offset:5760
	s_waitcnt vmcnt(9) lgkmcnt(8)
	v_mul_f64 v[209:210], v[171:172], v[78:79]
	v_mul_f64 v[78:79], v[169:170], v[78:79]
	s_waitcnt vmcnt(8) lgkmcnt(7)
	v_mul_f64 v[211:212], v[175:176], v[126:127]
	v_mul_f64 v[193:194], v[167:168], v[74:75]
	;; [unrolled: 1-line block ×4, first 2 shown]
	s_waitcnt vmcnt(7) lgkmcnt(6)
	v_mul_f64 v[213:214], v[179:180], v[130:131]
	v_mul_f64 v[130:131], v[177:178], v[130:131]
	s_waitcnt vmcnt(6) lgkmcnt(5)
	v_mul_f64 v[215:216], v[183:184], v[134:135]
	v_mul_f64 v[134:135], v[181:182], v[134:135]
	;; [unrolled: 3-line block ×6, first 2 shown]
	s_waitcnt vmcnt(1)
	v_mul_f64 v[225:226], v[163:164], v[155:156]
	v_mul_f64 v[155:156], v[161:162], v[155:156]
	s_waitcnt vmcnt(0)
	v_mul_f64 v[227:228], v[191:192], v[159:160]
	v_mul_f64 v[159:160], v[189:190], v[159:160]
	v_fma_f64 v[165:166], v[165:166], v[72:73], -v[193:194]
	v_fma_f64 v[167:168], v[167:168], v[72:73], v[74:75]
	v_fma_f64 v[72:73], v[169:170], v[76:77], -v[209:210]
	v_fma_f64 v[74:75], v[171:172], v[76:77], v[78:79]
	;; [unrolled: 2-line block ×11, first 2 shown]
	ds_write_b128 v255, v[165:168] offset:576
	ds_write_b128 v255, v[72:75] offset:1152
	;; [unrolled: 1-line block ×8, first 2 shown]
	ds_write_b128 v255, v[149:152]
	ds_write_b128 v255, v[153:156] offset:4032
	ds_write_b128 v255, v[145:148] offset:5760
.LBB0_13:
	s_or_b64 exec, exec, s[14:15]
	s_waitcnt lgkmcnt(0)
	; wave barrier
	s_waitcnt lgkmcnt(0)
	s_and_saveexec_b64 s[4:5], s[0:1]
	s_cbranch_execz .LBB0_15
; %bb.14:
	ds_read_b128 v[120:123], v255
	ds_read_b128 v[116:119], v255 offset:576
	ds_read_b128 v[108:111], v255 offset:1152
	;; [unrolled: 1-line block ×10, first 2 shown]
.LBB0_15:
	s_or_b64 exec, exec, s[4:5]
	s_waitcnt lgkmcnt(0)
	v_add_f64 v[140:141], v[118:119], -v[82:83]
	v_add_f64 v[165:166], v[82:83], v[118:119]
	s_mov_b32 s14, 0x8764f0ba
	s_mov_b32 s24, 0xf8bb580b
	;; [unrolled: 1-line block ×4, first 2 shown]
	v_add_f64 v[163:164], v[80:81], v[116:117]
	v_add_f64 v[142:143], v[116:117], -v[80:81]
	v_mul_f64 v[219:220], v[140:141], s[24:25]
	v_mul_f64 v[147:148], v[165:166], s[14:15]
	v_add_f64 v[189:190], v[86:87], v[110:111]
	v_add_f64 v[245:246], v[110:111], -v[86:87]
	s_mov_b32 s16, 0xd9c712b6
	s_mov_b32 s17, 0x3fda9628
	;; [unrolled: 1-line block ×4, first 2 shown]
	v_fma_f64 v[72:73], v[163:164], s[14:15], -v[219:220]
	v_fma_f64 v[74:75], v[142:143], s[24:25], v[147:148]
	v_mul_f64 v[153:154], v[140:141], s[28:29]
	v_mul_f64 v[155:156], v[165:166], s[16:17]
	v_add_f64 v[173:174], v[84:85], v[108:109]
	v_add_f64 v[251:252], v[108:109], -v[84:85]
	v_mul_f64 v[149:150], v[245:246], s[28:29]
	v_mul_f64 v[151:152], v[189:190], s[16:17]
	s_mov_b32 s18, 0x7f775887
	s_mov_b32 s30, 0xbb3a28a1
	;; [unrolled: 1-line block ×4, first 2 shown]
	v_add_f64 v[72:73], v[120:121], v[72:73]
	v_add_f64 v[74:75], v[122:123], v[74:75]
	v_fma_f64 v[76:77], v[163:164], s[16:17], -v[153:154]
	v_fma_f64 v[78:79], v[142:143], s[28:29], v[155:156]
	v_fma_f64 v[124:125], v[173:174], s[16:17], -v[149:150]
	v_fma_f64 v[126:127], v[251:252], s[28:29], v[151:152]
	v_mul_f64 v[157:158], v[245:246], s[30:31]
	v_mul_f64 v[175:176], v[189:190], s[18:19]
	v_add_f64 v[247:248], v[102:103], -v[98:99]
	v_add_f64 v[227:228], v[102:103], v[98:99]
	s_mov_b32 s20, 0x640f44db
	s_mov_b32 s26, 0x43842ef
	;; [unrolled: 1-line block ×8, first 2 shown]
	v_add_f64 v[183:184], v[100:101], v[96:97]
	v_add_f64 v[185:186], v[100:101], -v[96:97]
	v_mul_f64 v[159:160], v[247:248], s[26:27]
	v_mul_f64 v[161:162], v[227:228], s[20:21]
	v_add_f64 v[76:77], v[120:121], v[76:77]
	v_add_f64 v[78:79], v[122:123], v[78:79]
	;; [unrolled: 1-line block ×4, first 2 shown]
	v_fma_f64 v[124:125], v[173:174], s[18:19], -v[157:158]
	v_fma_f64 v[126:127], v[251:252], s[30:31], v[175:176]
	v_mul_f64 v[167:168], v[247:248], s[34:35]
	v_mul_f64 v[197:198], v[227:228], s[22:23]
	v_add_f64 v[249:250], v[114:115], -v[90:91]
	v_add_f64 v[233:234], v[114:115], v[90:91]
	s_mov_b32 s37, 0x3fefac9e
	s_mov_b32 s36, s26
	v_fma_f64 v[128:129], v[183:184], s[20:21], -v[159:160]
	v_fma_f64 v[130:131], v[185:186], s[26:27], v[161:162]
	v_add_f64 v[76:77], v[124:125], v[76:77]
	v_add_f64 v[78:79], v[126:127], v[78:79]
	v_fma_f64 v[124:125], v[183:184], s[22:23], -v[167:168]
	v_fma_f64 v[126:127], v[185:186], s[34:35], v[197:198]
	v_add_f64 v[221:222], v[112:113], v[88:89]
	v_add_f64 v[191:192], v[112:113], -v[88:89]
	v_mul_f64 v[169:170], v[249:250], s[30:31]
	v_mul_f64 v[171:172], v[233:234], s[18:19]
	;; [unrolled: 1-line block ×4, first 2 shown]
	v_add_f64 v[253:254], v[106:107], -v[94:95]
	v_add_f64 v[243:244], v[94:95], v[106:107]
	s_mov_b32 s39, 0xbfd207e7
	s_mov_b32 s38, s34
	;; [unrolled: 1-line block ×4, first 2 shown]
	v_add_f64 v[72:73], v[128:129], v[72:73]
	v_add_f64 v[74:75], v[130:131], v[74:75]
	;; [unrolled: 1-line block ×4, first 2 shown]
	v_fma_f64 v[124:125], v[221:222], s[18:19], -v[169:170]
	v_fma_f64 v[126:127], v[191:192], s[30:31], v[171:172]
	v_fma_f64 v[128:129], v[221:222], s[20:21], -v[177:178]
	v_fma_f64 v[130:131], v[191:192], s[36:37], v[223:224]
	v_add_f64 v[229:230], v[92:93], v[104:105]
	v_add_f64 v[193:194], v[104:105], -v[92:93]
	v_mul_f64 v[179:180], v[253:254], s[38:39]
	v_mul_f64 v[181:182], v[243:244], s[22:23]
	;; [unrolled: 1-line block ×4, first 2 shown]
	v_add_f64 v[72:73], v[124:125], v[72:73]
	v_add_f64 v[74:75], v[126:127], v[74:75]
	;; [unrolled: 1-line block ×4, first 2 shown]
	v_fma_f64 v[76:77], v[229:230], s[22:23], -v[179:180]
	v_fma_f64 v[78:79], v[193:194], s[38:39], v[181:182]
	v_fma_f64 v[128:129], v[229:230], s[14:15], -v[187:188]
	v_fma_f64 v[130:131], v[193:194], s[40:41], v[231:232]
	s_waitcnt lgkmcnt(0)
	; wave barrier
	v_add_f64 v[76:77], v[76:77], v[72:73]
	v_add_f64 v[78:79], v[78:79], v[74:75]
	;; [unrolled: 1-line block ×4, first 2 shown]
	s_and_saveexec_b64 s[4:5], s[0:1]
	s_cbranch_execz .LBB0_17
; %bb.16:
	v_mul_f64 v[124:125], v[163:164], s[14:15]
	v_mul_f64 v[144:145], v[142:143], s[38:39]
	;; [unrolled: 1-line block ×6, first 2 shown]
	v_mov_b32_e32 v146, v235
	v_mul_f64 v[235:236], v[247:248], s[30:31]
	buffer_store_dword v124, off, s[44:47], 0 ; 4-byte Folded Spill
	s_nop 0
	buffer_store_dword v125, off, s[44:47], 0 offset:4 ; 4-byte Folded Spill
	v_mul_f64 v[124:125], v[142:143], s[24:25]
	v_fma_f64 v[203:204], v[165:166], s[22:23], v[144:145]
	v_fma_f64 v[144:145], v[165:166], s[22:23], -v[144:145]
	v_fma_f64 v[138:139], v[189:190], s[14:15], v[136:137]
	v_fma_f64 v[213:214], v[163:164], s[22:23], -v[199:200]
	v_fma_f64 v[136:137], v[189:190], s[14:15], -v[136:137]
	v_fma_f64 v[134:135], v[227:228], s[18:19], v[132:133]
	v_fma_f64 v[241:242], v[173:174], s[14:15], -v[239:240]
	buffer_store_dword v124, off, s[44:47], 0 offset:24 ; 4-byte Folded Spill
	s_nop 0
	buffer_store_dword v125, off, s[44:47], 0 offset:28 ; 4-byte Folded Spill
	v_mul_f64 v[124:125], v[163:164], s[16:17]
	v_add_f64 v[203:204], v[122:123], v[203:204]
	v_add_f64 v[144:145], v[122:123], v[144:145]
	;; [unrolled: 1-line block ×3, first 2 shown]
	v_fma_f64 v[132:133], v[227:228], s[18:19], -v[132:133]
	v_mul_f64 v[128:129], v[193:194], s[26:27]
	v_fma_f64 v[237:238], v[183:184], s[18:19], -v[235:236]
	v_mul_f64 v[217:218], v[140:141], s[30:31]
	buffer_store_dword v124, off, s[44:47], 0 offset:64 ; 4-byte Folded Spill
	s_nop 0
	buffer_store_dword v125, off, s[44:47], 0 offset:68 ; 4-byte Folded Spill
	v_mul_f64 v[124:125], v[142:143], s[28:29]
	v_add_f64 v[138:139], v[138:139], v[203:204]
	v_add_f64 v[136:137], v[136:137], v[144:145]
	;; [unrolled: 1-line block ×3, first 2 shown]
	v_mul_f64 v[144:145], v[185:186], s[24:25]
	v_mul_f64 v[211:212], v[245:246], s[36:37]
	v_fma_f64 v[225:226], v[163:164], s[18:19], -v[217:218]
	v_mul_f64 v[207:208], v[185:186], s[34:35]
	buffer_store_dword v124, off, s[44:47], 0 offset:104 ; 4-byte Folded Spill
	s_nop 0
	buffer_store_dword v125, off, s[44:47], 0 offset:108 ; 4-byte Folded Spill
	v_mul_f64 v[124:125], v[173:174], s[16:17]
	v_add_f64 v[134:135], v[134:135], v[138:139]
	v_add_f64 v[132:133], v[132:133], v[136:137]
	v_add_f64 v[213:214], v[237:238], v[213:214]
	v_fma_f64 v[136:137], v[173:174], s[14:15], v[239:240]
	v_mul_f64 v[239:240], v[247:248], s[24:25]
	v_fma_f64 v[215:216], v[173:174], s[20:21], -v[211:212]
	v_add_f64 v[225:226], v[120:121], v[225:226]
	buffer_store_dword v124, off, s[44:47], 0 offset:8 ; 4-byte Folded Spill
	s_nop 0
	buffer_store_dword v125, off, s[44:47], 0 offset:12 ; 4-byte Folded Spill
	v_mul_f64 v[124:125], v[251:252], s[28:29]
	s_mov_b32 s29, 0x3fed1bb4
	v_mul_f64 v[130:131], v[191:192], s[28:29]
	v_mul_f64 v[138:139], v[249:250], s[28:29]
	v_fma_f64 v[241:242], v[183:184], s[14:15], -v[239:240]
	v_mul_f64 v[205:206], v[191:192], s[36:37]
	v_add_f64 v[215:216], v[215:216], v[225:226]
	v_mul_f64 v[209:210], v[251:252], s[30:31]
	buffer_store_dword v124, off, s[44:47], 0 offset:40 ; 4-byte Folded Spill
	s_nop 0
	buffer_store_dword v125, off, s[44:47], 0 offset:44 ; 4-byte Folded Spill
	v_mul_f64 v[124:125], v[173:174], s[18:19]
	v_fma_f64 v[126:127], v[233:234], s[16:17], v[130:131]
	v_fma_f64 v[130:131], v[233:234], s[16:17], -v[130:131]
	v_fma_f64 v[203:204], v[221:222], s[16:17], -v[138:139]
	v_mul_f64 v[201:202], v[193:194], s[40:41]
	v_add_f64 v[215:216], v[241:242], v[215:216]
	v_add_f64 v[175:176], v[175:176], -v[209:210]
	v_add_f64 v[118:119], v[122:123], v[118:119]
	buffer_store_dword v124, off, s[44:47], 0 offset:80 ; 4-byte Folded Spill
	s_nop 0
	buffer_store_dword v125, off, s[44:47], 0 offset:84 ; 4-byte Folded Spill
	v_mul_f64 v[124:125], v[183:184], s[20:21]
	v_add_f64 v[126:127], v[126:127], v[134:135]
	v_mul_f64 v[134:135], v[253:254], s[26:27]
	v_add_f64 v[130:131], v[130:131], v[132:133]
	v_add_f64 v[203:204], v[203:204], v[213:214]
	v_fma_f64 v[132:133], v[221:222], s[16:17], v[138:139]
	v_fma_f64 v[138:139], v[163:164], s[22:23], v[199:200]
	;; [unrolled: 1-line block ×3, first 2 shown]
	buffer_store_dword v124, off, s[44:47], 0 offset:16 ; 4-byte Folded Spill
	s_nop 0
	buffer_store_dword v125, off, s[44:47], 0 offset:20 ; 4-byte Folded Spill
	v_mul_f64 v[124:125], v[185:186], s[26:27]
	v_fma_f64 v[144:145], v[227:228], s[14:15], -v[144:145]
	v_mul_f64 v[185:186], v[185:186], s[28:29]
	v_add_f64 v[110:111], v[110:111], v[118:119]
	buffer_store_dword v124, off, s[44:47], 0 offset:56 ; 4-byte Folded Spill
	s_nop 0
	buffer_store_dword v125, off, s[44:47], 0 offset:60 ; 4-byte Folded Spill
	v_mul_f64 v[124:125], v[183:184], s[22:23]
	v_add_f64 v[138:139], v[120:121], v[138:139]
	v_add_f64 v[102:103], v[102:103], v[110:111]
	buffer_store_dword v124, off, s[44:47], 0 offset:96 ; 4-byte Folded Spill
	s_nop 0
	buffer_store_dword v125, off, s[44:47], 0 offset:100 ; 4-byte Folded Spill
	v_mul_f64 v[124:125], v[221:222], s[18:19]
	v_add_f64 v[136:137], v[136:137], v[138:139]
	v_mul_f64 v[138:139], v[191:192], s[38:39]
	v_add_f64 v[102:103], v[114:115], v[102:103]
	buffer_store_dword v124, off, s[44:47], 0 offset:32 ; 4-byte Folded Spill
	s_nop 0
	buffer_store_dword v125, off, s[44:47], 0 offset:36 ; 4-byte Folded Spill
	v_mul_f64 v[124:125], v[191:192], s[30:31]
	v_mul_f64 v[191:192], v[191:192], s[24:25]
	v_add_f64 v[102:103], v[106:107], v[102:103]
	buffer_store_dword v124, off, s[44:47], 0 offset:72 ; 4-byte Folded Spill
	s_nop 0
	buffer_store_dword v125, off, s[44:47], 0 offset:76 ; 4-byte Folded Spill
	v_mul_f64 v[124:125], v[221:222], s[20:21]
	v_add_f64 v[94:95], v[94:95], v[102:103]
	buffer_store_dword v124, off, s[44:47], 0 offset:112 ; 4-byte Folded Spill
	s_nop 0
	buffer_store_dword v125, off, s[44:47], 0 offset:116 ; 4-byte Folded Spill
	;; [unrolled: 5-line block ×5, first 2 shown]
	v_fma_f64 v[124:125], v[243:244], s[20:21], v[128:129]
	v_fma_f64 v[128:129], v[243:244], s[20:21], -v[128:129]
	v_add_f64 v[82:83], v[82:83], v[86:87]
	v_add_f64 v[86:87], v[120:121], v[116:117]
	;; [unrolled: 1-line block ×3, first 2 shown]
	v_fma_f64 v[124:125], v[229:230], s[20:21], -v[134:135]
	v_add_f64 v[130:131], v[128:129], v[130:131]
	v_fma_f64 v[128:129], v[229:230], s[20:21], v[134:135]
	v_fma_f64 v[134:135], v[183:184], s[18:19], v[235:236]
	v_mul_f64 v[235:236], v[142:143], s[30:31]
	v_add_f64 v[86:87], v[108:109], v[86:87]
	v_add_f64 v[124:125], v[124:125], v[203:204]
	v_mul_f64 v[203:204], v[251:252], s[36:37]
	v_add_f64 v[134:135], v[134:135], v[136:137]
	v_fma_f64 v[237:238], v[165:166], s[18:19], v[235:236]
	v_mul_f64 v[136:137], v[193:194], s[28:29]
	v_add_f64 v[86:87], v[100:101], v[86:87]
	v_fma_f64 v[213:214], v[189:190], s[20:21], v[203:204]
	v_fma_f64 v[203:204], v[189:190], s[20:21], -v[203:204]
	v_add_f64 v[132:133], v[132:133], v[134:135]
	v_add_f64 v[237:238], v[122:123], v[237:238]
	v_fma_f64 v[134:135], v[233:234], s[22:23], v[138:139]
	v_fma_f64 v[138:139], v[233:234], s[22:23], -v[138:139]
	v_add_f64 v[86:87], v[112:113], v[86:87]
	v_add_f64 v[128:129], v[128:129], v[132:133]
	;; [unrolled: 1-line block ×3, first 2 shown]
	v_fma_f64 v[132:133], v[243:244], s[16:17], v[136:137]
	v_fma_f64 v[136:137], v[243:244], s[16:17], -v[136:137]
	v_add_f64 v[86:87], v[104:105], v[86:87]
	v_add_f64 v[199:200], v[199:200], v[213:214]
	v_mul_f64 v[213:214], v[249:250], s[38:39]
	v_add_f64 v[86:87], v[92:93], v[86:87]
	v_add_f64 v[134:135], v[134:135], v[199:200]
	v_mul_f64 v[199:200], v[253:254], s[28:29]
	v_fma_f64 v[237:238], v[221:222], s[22:23], -v[213:214]
	v_add_f64 v[86:87], v[88:89], v[86:87]
	v_add_f64 v[134:135], v[132:133], v[134:135]
	v_fma_f64 v[132:133], v[229:230], s[16:17], -v[199:200]
	v_add_f64 v[215:216], v[237:238], v[215:216]
	v_add_f64 v[86:87], v[96:97], v[86:87]
	;; [unrolled: 1-line block ×3, first 2 shown]
	v_fma_f64 v[215:216], v[165:166], s[18:19], -v[235:236]
	v_mul_f64 v[235:236], v[245:246], s[34:35]
	v_add_f64 v[84:85], v[84:85], v[86:87]
	v_add_f64 v[215:216], v[122:123], v[215:216]
	v_fma_f64 v[237:238], v[173:174], s[22:23], -v[235:236]
	v_add_f64 v[80:81], v[80:81], v[84:85]
	v_mul_lo_u16_e32 v84, 11, v195
	v_lshlrev_b32_e32 v84, 4, v84
	v_add_f64 v[203:204], v[203:204], v[215:216]
	v_mul_f64 v[215:216], v[142:143], s[26:27]
	v_add_f64 v[144:145], v[144:145], v[203:204]
	v_fma_f64 v[203:204], v[173:174], s[20:21], v[211:212]
	v_fma_f64 v[211:212], v[163:164], s[18:19], v[217:218]
	;; [unrolled: 1-line block ×3, first 2 shown]
	v_fma_f64 v[165:166], v[165:166], s[20:21], -v[215:216]
	v_mul_f64 v[217:218], v[247:248], s[28:29]
	v_fma_f64 v[173:174], v[173:174], s[22:23], v[235:236]
	v_mov_b32_e32 v235, v146
	v_add_f64 v[138:139], v[138:139], v[144:145]
	v_fma_f64 v[144:145], v[221:222], s[22:23], v[213:214]
	v_add_f64 v[211:212], v[120:121], v[211:212]
	v_add_f64 v[142:143], v[122:123], v[142:143]
	;; [unrolled: 1-line block ×3, first 2 shown]
	v_fma_f64 v[225:226], v[183:184], s[16:17], -v[217:218]
	v_add_f64 v[138:139], v[136:137], v[138:139]
	v_fma_f64 v[136:137], v[229:230], s[16:17], v[199:200]
	v_fma_f64 v[199:200], v[183:184], s[14:15], v[239:240]
	v_add_f64 v[203:204], v[203:204], v[211:212]
	v_mul_f64 v[211:212], v[251:252], s[34:35]
	v_mul_f64 v[239:240], v[140:141], s[26:27]
	v_fma_f64 v[183:184], v[183:184], s[16:17], v[217:218]
	v_add_f64 v[199:200], v[199:200], v[203:204]
	v_fma_f64 v[213:214], v[189:190], s[22:23], v[211:212]
	v_fma_f64 v[140:141], v[163:164], s[20:21], -v[239:240]
	v_fma_f64 v[163:164], v[163:164], s[20:21], v[239:240]
	v_fma_f64 v[203:204], v[227:228], s[16:17], v[185:186]
	v_fma_f64 v[189:190], v[189:190], s[22:23], -v[211:212]
	v_fma_f64 v[185:186], v[227:228], s[16:17], -v[185:186]
	v_add_f64 v[144:145], v[144:145], v[199:200]
	v_add_f64 v[142:143], v[213:214], v[142:143]
	v_fma_f64 v[199:200], v[233:234], s[14:15], v[191:192]
	v_add_f64 v[163:164], v[120:121], v[163:164]
	v_fma_f64 v[191:192], v[233:234], s[14:15], -v[191:192]
	v_add_f64 v[165:166], v[189:190], v[165:166]
	v_add_f64 v[140:141], v[120:121], v[140:141]
	;; [unrolled: 1-line block ×4, first 2 shown]
	v_mul_f64 v[203:204], v[249:250], s[24:25]
	v_add_f64 v[163:164], v[173:174], v[163:164]
	v_mul_f64 v[144:145], v[193:194], s[30:31]
	v_add_f64 v[165:166], v[185:186], v[165:166]
	v_add_f64 v[173:174], v[223:224], -v[205:206]
	v_add_f64 v[140:141], v[237:238], v[140:141]
	v_add_f64 v[142:143], v[199:200], v[142:143]
	v_fma_f64 v[185:186], v[221:222], s[14:15], v[203:204]
	v_add_f64 v[163:164], v[183:184], v[163:164]
	v_fma_f64 v[193:194], v[243:244], s[18:19], v[144:145]
	v_fma_f64 v[144:145], v[243:244], s[18:19], -v[144:145]
	v_add_f64 v[165:166], v[191:192], v[165:166]
	v_add_f64 v[183:184], v[197:198], -v[207:208]
	v_fma_f64 v[213:214], v[221:222], s[14:15], -v[203:204]
	v_add_f64 v[140:141], v[225:226], v[140:141]
	v_add_f64 v[163:164], v[185:186], v[163:164]
	buffer_load_dword v185, off, s[44:47], 0 offset:104 ; 4-byte Folded Reload
	buffer_load_dword v186, off, s[44:47], 0 offset:108 ; 4-byte Folded Reload
	v_add_f64 v[142:143], v[193:194], v[142:143]
	v_mul_f64 v[193:194], v[253:254], s[30:31]
	v_add_f64 v[165:166], v[144:145], v[165:166]
	v_add_f64 v[140:141], v[213:214], v[140:141]
	v_fma_f64 v[144:145], v[229:230], s[18:19], v[193:194]
	v_fma_f64 v[199:200], v[229:230], s[18:19], -v[193:194]
	v_add_f64 v[163:164], v[144:145], v[163:164]
	v_add_f64 v[144:145], v[231:232], -v[201:202]
	v_add_f64 v[140:141], v[199:200], v[140:141]
	s_waitcnt vmcnt(0)
	v_add_f64 v[155:156], v[155:156], -v[185:186]
	v_add_f64 v[155:156], v[122:123], v[155:156]
	v_add_f64 v[155:156], v[175:176], v[155:156]
	;; [unrolled: 1-line block ×5, first 2 shown]
	buffer_load_dword v144, off, s[44:47], 0 offset:120 ; 4-byte Folded Reload
	buffer_load_dword v145, off, s[44:47], 0 offset:124 ; 4-byte Folded Reload
	;; [unrolled: 1-line block ×6, first 2 shown]
	s_waitcnt vmcnt(4)
	v_add_f64 v[144:145], v[144:145], v[187:188]
	s_waitcnt vmcnt(2)
	v_add_f64 v[173:174], v[173:174], v[177:178]
	;; [unrolled: 2-line block ×3, first 2 shown]
	buffer_load_dword v175, off, s[44:47], 0 offset:80 ; 4-byte Folded Reload
	buffer_load_dword v176, off, s[44:47], 0 offset:84 ; 4-byte Folded Reload
	s_waitcnt vmcnt(0)
	v_add_f64 v[157:158], v[175:176], v[157:158]
	buffer_load_dword v175, off, s[44:47], 0 offset:64 ; 4-byte Folded Reload
	buffer_load_dword v176, off, s[44:47], 0 offset:68 ; 4-byte Folded Reload
	s_waitcnt vmcnt(0)
	v_add_f64 v[153:154], v[175:176], v[153:154]
	v_add_f64 v[153:154], v[120:121], v[153:154]
	;; [unrolled: 1-line block ×6, first 2 shown]
	buffer_load_dword v144, off, s[44:47], 0 offset:88 ; 4-byte Folded Reload
	buffer_load_dword v145, off, s[44:47], 0 offset:92 ; 4-byte Folded Reload
	;; [unrolled: 1-line block ×6, first 2 shown]
	s_waitcnt vmcnt(4)
	v_add_f64 v[144:145], v[181:182], -v[144:145]
	s_waitcnt vmcnt(2)
	v_add_f64 v[157:158], v[171:172], -v[157:158]
	;; [unrolled: 2-line block ×3, first 2 shown]
	buffer_load_dword v167, off, s[44:47], 0 offset:40 ; 4-byte Folded Reload
	buffer_load_dword v168, off, s[44:47], 0 offset:44 ; 4-byte Folded Reload
	s_waitcnt vmcnt(0)
	v_add_f64 v[151:152], v[151:152], -v[167:168]
	buffer_load_dword v167, off, s[44:47], 0 offset:24 ; 4-byte Folded Reload
	buffer_load_dword v168, off, s[44:47], 0 offset:28 ; 4-byte Folded Reload
	s_waitcnt vmcnt(0)
	v_add_f64 v[146:147], v[147:148], -v[167:168]
	v_add_f64 v[146:147], v[122:123], v[146:147]
	v_add_f64 v[146:147], v[151:152], v[146:147]
	;; [unrolled: 1-line block ×5, first 2 shown]
	buffer_load_dword v144, off, s[44:47], 0 offset:48 ; 4-byte Folded Reload
	buffer_load_dword v145, off, s[44:47], 0 offset:52 ; 4-byte Folded Reload
	;; [unrolled: 1-line block ×6, first 2 shown]
	s_waitcnt vmcnt(4)
	v_add_f64 v[144:145], v[144:145], v[179:180]
	s_waitcnt vmcnt(2)
	v_add_f64 v[151:152], v[151:152], v[169:170]
	;; [unrolled: 2-line block ×3, first 2 shown]
	buffer_load_dword v159, off, s[44:47], 0 offset:8 ; 4-byte Folded Reload
	buffer_load_dword v160, off, s[44:47], 0 offset:12 ; 4-byte Folded Reload
	s_waitcnt vmcnt(0)
	v_add_f64 v[149:150], v[159:160], v[149:150]
	buffer_load_dword v159, off, s[44:47], 0 ; 4-byte Folded Reload
	buffer_load_dword v160, off, s[44:47], 0 offset:4 ; 4-byte Folded Reload
	s_waitcnt vmcnt(0)
	v_add_f64 v[159:160], v[159:160], v[219:220]
	v_add_f64 v[159:160], v[120:121], v[159:160]
	;; [unrolled: 1-line block ×6, first 2 shown]
	ds_write_b128 v84, v[80:83]
	ds_write_b128 v84, v[145:148] offset:16
	ds_write_b128 v84, v[153:156] offset:32
	;; [unrolled: 1-line block ×10, first 2 shown]
.LBB0_17:
	s_or_b64 exec, exec, s[4:5]
	s_waitcnt lgkmcnt(0)
	; wave barrier
	s_waitcnt lgkmcnt(0)
	ds_read_b128 v[80:83], v255
	ds_read_b128 v[84:87], v255 offset:704
	ds_read_b128 v[88:91], v255 offset:1408
	;; [unrolled: 1-line block ×5, first 2 shown]
	s_waitcnt lgkmcnt(4)
	v_mul_f64 v[116:117], v[14:15], v[86:87]
	v_mul_f64 v[14:15], v[14:15], v[84:85]
	s_waitcnt lgkmcnt(3)
	v_mul_f64 v[118:119], v[10:11], v[90:91]
	v_mul_f64 v[10:11], v[10:11], v[88:89]
	;; [unrolled: 3-line block ×3, first 2 shown]
	ds_read_b128 v[104:107], v255 offset:4224
	ds_read_b128 v[108:111], v255 offset:4928
	ds_read_b128 v[112:115], v255 offset:5632
	s_mov_b32 s15, 0x3fe491b7
	v_fma_f64 v[84:85], v[12:13], v[84:85], v[116:117]
	v_fma_f64 v[12:13], v[12:13], v[86:87], -v[14:15]
	s_waitcnt lgkmcnt(4)
	v_mul_f64 v[14:15], v[2:3], v[98:99]
	v_mul_f64 v[2:3], v[2:3], v[96:97]
	v_fma_f64 v[86:87], v[8:9], v[88:89], v[118:119]
	v_fma_f64 v[8:9], v[8:9], v[90:91], -v[10:11]
	v_fma_f64 v[10:11], v[4:5], v[92:93], v[120:121]
	v_fma_f64 v[4:5], v[4:5], v[94:95], -v[6:7]
	s_waitcnt lgkmcnt(0)
	v_mul_f64 v[6:7], v[30:31], v[114:115]
	v_mul_f64 v[30:31], v[30:31], v[112:113]
	v_fma_f64 v[14:15], v[0:1], v[96:97], v[14:15]
	v_fma_f64 v[88:89], v[0:1], v[98:99], -v[2:3]
	v_mul_f64 v[0:1], v[26:27], v[110:111]
	v_mul_f64 v[2:3], v[26:27], v[108:109]
	v_mul_f64 v[26:27], v[22:23], v[102:103]
	v_mul_f64 v[22:23], v[22:23], v[100:101]
	v_fma_f64 v[6:7], v[28:29], v[112:113], v[6:7]
	v_fma_f64 v[28:29], v[28:29], v[114:115], -v[30:31]
	v_mul_f64 v[30:31], v[18:19], v[106:107]
	v_mul_f64 v[18:19], v[18:19], v[104:105]
	v_fma_f64 v[0:1], v[24:25], v[108:109], v[0:1]
	v_fma_f64 v[2:3], v[24:25], v[110:111], -v[2:3]
	v_fma_f64 v[24:25], v[20:21], v[100:101], v[26:27]
	v_fma_f64 v[20:21], v[20:21], v[102:103], -v[22:23]
	v_add_f64 v[22:23], v[84:85], -v[6:7]
	v_add_f64 v[26:27], v[12:13], -v[28:29]
	s_mov_b32 s14, 0x523c161c
	v_fma_f64 v[30:31], v[16:17], v[104:105], v[30:31]
	v_fma_f64 v[16:17], v[16:17], v[106:107], -v[18:19]
	v_add_f64 v[18:19], v[86:87], -v[0:1]
	v_add_f64 v[90:91], v[8:9], -v[2:3]
	s_mov_b32 s18, 0x8c811c17
	v_mul_f64 v[92:93], v[22:23], s[14:15]
	v_mul_f64 v[94:95], v[26:27], s[14:15]
	s_mov_b32 s19, 0x3fef838b
	v_add_f64 v[84:85], v[84:85], v[6:7]
	v_add_f64 v[12:13], v[12:13], v[28:29]
	v_add_f64 v[28:29], v[10:11], -v[30:31]
	v_add_f64 v[96:97], v[4:5], -v[16:17]
	s_mov_b32 s4, 0xe8584cab
	v_fma_f64 v[6:7], v[18:19], s[18:19], v[92:93]
	v_fma_f64 v[92:93], v[90:91], s[18:19], v[94:95]
	s_mov_b32 s20, 0xa2cf5039
	s_mov_b32 s5, 0x3febb67a
	;; [unrolled: 1-line block ×3, first 2 shown]
	v_add_f64 v[86:87], v[86:87], v[0:1]
	v_add_f64 v[94:95], v[8:9], v[2:3]
	;; [unrolled: 1-line block ×3, first 2 shown]
	v_fma_f64 v[0:1], v[28:29], s[4:5], v[6:7]
	v_fma_f64 v[2:3], v[96:97], s[4:5], v[92:93]
	v_add_f64 v[92:93], v[14:15], -v[24:25]
	v_add_f64 v[98:99], v[88:89], -v[20:21]
	v_fma_f64 v[4:5], v[84:85], s[20:21], v[80:81]
	v_fma_f64 v[6:7], v[12:13], s[20:21], v[82:83]
	v_add_f64 v[100:101], v[14:15], v[24:25]
	v_add_f64 v[102:103], v[88:89], v[20:21]
	s_mov_b32 s16, 0x748a0bf8
	s_mov_b32 s22, 0x7e0b738b
	;; [unrolled: 1-line block ×5, first 2 shown]
	v_add_f64 v[30:31], v[10:11], v[30:31]
	v_fma_f64 v[8:9], v[92:93], s[16:17], v[0:1]
	v_fma_f64 v[0:1], v[86:87], s[22:23], v[4:5]
	;; [unrolled: 1-line block ×3, first 2 shown]
	v_mul_f64 v[6:7], v[92:93], s[14:15]
	v_mul_f64 v[10:11], v[98:99], s[14:15]
	v_fma_f64 v[104:105], v[100:101], s[20:21], v[80:81]
	v_fma_f64 v[106:107], v[102:103], s[20:21], v[82:83]
	s_mov_b32 s24, 0x42522d1b
	s_mov_b32 s25, 0xbfee11f6
	v_fma_f64 v[0:1], v[30:31], -0.5, v[0:1]
	v_fma_f64 v[4:5], v[16:17], -0.5, v[4:5]
	v_fma_f64 v[6:7], v[22:23], s[18:19], v[6:7]
	v_fma_f64 v[10:11], v[26:27], s[18:19], v[10:11]
	;; [unrolled: 1-line block ×4, first 2 shown]
	s_mov_b32 s27, 0xbfebb67a
	s_mov_b32 s26, s4
	v_fma_f64 v[2:3], v[98:99], s[16:17], v[2:3]
	v_fma_f64 v[0:1], v[100:101], s[24:25], v[0:1]
	;; [unrolled: 1-line block ×5, first 2 shown]
	v_fma_f64 v[104:105], v[30:31], -0.5, v[104:105]
	v_fma_f64 v[106:107], v[16:17], -0.5, v[106:107]
	v_add_f64 v[112:113], v[98:99], v[26:27]
	v_mul_f64 v[98:99], v[98:99], s[18:19]
	v_add_f64 v[4:5], v[0:1], -v[2:3]
	v_add_f64 v[6:7], v[8:9], v[108:109]
	v_fma_f64 v[108:109], v[18:19], s[16:17], v[110:111]
	v_fma_f64 v[110:111], v[90:91], s[16:17], v[10:11]
	;; [unrolled: 1-line block ×4, first 2 shown]
	v_add_f64 v[106:107], v[92:93], v[22:23]
	v_mul_f64 v[92:93], v[92:93], s[18:19]
	v_fma_f64 v[0:1], v[2:3], 2.0, v[4:5]
	v_fma_f64 v[2:3], v[8:9], -2.0, v[6:7]
	v_fma_f64 v[114:115], v[94:95], s[20:21], v[82:83]
	v_add_f64 v[94:95], v[94:95], v[12:13]
	v_add_f64 v[8:9], v[10:11], -v[110:111]
	v_add_f64 v[10:11], v[108:109], v[104:105]
	v_add_f64 v[104:105], v[106:107], -v[18:19]
	v_add_f64 v[106:107], v[112:113], -v[90:91]
	v_fma_f64 v[112:113], v[86:87], s[20:21], v[80:81]
	v_add_f64 v[86:87], v[86:87], v[84:85]
	v_fma_f64 v[18:19], v[18:19], s[14:15], -v[92:93]
	v_fma_f64 v[90:91], v[90:91], s[14:15], -v[98:99]
	v_fma_f64 v[98:99], v[102:103], s[22:23], v[114:115]
	v_add_f64 v[116:117], v[80:81], v[30:31]
	v_add_f64 v[118:119], v[82:83], v[16:17]
	v_fma_f64 v[92:93], v[100:101], s[22:23], v[112:113]
	v_add_f64 v[100:101], v[100:101], v[86:87]
	v_add_f64 v[86:87], v[30:31], v[86:87]
	v_add_f64 v[112:113], v[16:17], v[94:95]
	v_add_f64 v[94:95], v[102:103], v[94:95]
	v_fma_f64 v[18:19], v[28:29], s[4:5], v[18:19]
	v_fma_f64 v[28:29], v[96:97], s[4:5], v[90:91]
	v_fma_f64 v[16:17], v[16:17], -0.5, v[98:99]
	v_fma_f64 v[30:31], v[30:31], -0.5, v[92:93]
	;; [unrolled: 1-line block ×3, first 2 shown]
	v_add_f64 v[14:15], v[14:15], v[86:87]
	v_add_f64 v[86:87], v[88:89], v[112:113]
	v_fma_f64 v[88:89], v[94:95], -0.5, v[118:119]
	v_fma_f64 v[92:93], v[22:23], s[16:17], v[18:19]
	v_fma_f64 v[94:95], v[26:27], s[16:17], v[28:29]
	v_fma_f64 v[22:23], v[12:13], s[24:25], v[16:17]
	v_fma_f64 v[18:19], v[84:85], s[24:25], v[30:31]
	v_mul_f64 v[30:31], v[104:105], s[4:5]
	v_add_f64 v[24:25], v[24:25], v[14:15]
	v_add_f64 v[26:27], v[20:21], v[86:87]
	v_mul_f64 v[28:29], v[106:107], s[4:5]
	v_fma_f64 v[12:13], v[106:107], s[26:27], v[90:91]
	v_fma_f64 v[14:15], v[104:105], s[4:5], v[88:89]
	v_fma_f64 v[20:21], v[110:111], 2.0, v[8:9]
	v_add_f64 v[16:17], v[18:19], -v[94:95]
	v_add_f64 v[18:19], v[92:93], v[22:23]
	v_add_f64 v[24:25], v[80:81], v[24:25]
	;; [unrolled: 1-line block ×3, first 2 shown]
	v_fma_f64 v[22:23], v[108:109], -2.0, v[10:11]
	v_fma_f64 v[28:29], v[28:29], 2.0, v[12:13]
	v_fma_f64 v[30:31], v[30:31], -2.0, v[14:15]
	; wave barrier
	v_fma_f64 v[80:81], v[94:95], 2.0, v[16:17]
	v_fma_f64 v[82:83], v[92:93], -2.0, v[18:19]
	ds_write_b128 v196, v[24:27]
	ds_write_b128 v196, v[4:7] offset:176
	ds_write_b128 v196, v[8:11] offset:352
	;; [unrolled: 1-line block ×8, first 2 shown]
	s_waitcnt lgkmcnt(0)
	; wave barrier
	s_waitcnt lgkmcnt(0)
	ds_read_b128 v[4:7], v255
	ds_read_b128 v[8:11], v255 offset:704
	ds_read_b128 v[28:31], v255 offset:1584
	;; [unrolled: 1-line block ×7, first 2 shown]
	s_and_saveexec_b64 s[4:5], s[2:3]
	s_cbranch_execz .LBB0_19
; %bb.18:
	ds_read_b128 v[0:3], v255 offset:1408
	ds_read_b128 v[72:75], v255 offset:2992
	;; [unrolled: 1-line block ×4, first 2 shown]
.LBB0_19:
	s_or_b64 exec, exec, s[4:5]
	s_waitcnt lgkmcnt(5)
	v_mul_f64 v[84:85], v[50:51], v[30:31]
	v_mul_f64 v[50:51], v[50:51], v[28:29]
	s_waitcnt lgkmcnt(3)
	v_mul_f64 v[86:87], v[46:47], v[82:83]
	v_mul_f64 v[46:47], v[46:47], v[80:81]
	s_waitcnt lgkmcnt(1)
	v_mul_f64 v[88:89], v[62:63], v[26:27]
	v_fma_f64 v[28:29], v[48:49], v[28:29], v[84:85]
	v_fma_f64 v[30:31], v[48:49], v[30:31], -v[50:51]
	v_fma_f64 v[48:49], v[44:45], v[80:81], v[86:87]
	v_fma_f64 v[44:45], v[44:45], v[82:83], -v[46:47]
	v_mul_f64 v[46:47], v[62:63], v[24:25]
	v_mul_f64 v[50:51], v[66:67], v[14:15]
	;; [unrolled: 1-line block ×5, first 2 shown]
	s_waitcnt lgkmcnt(0)
	v_mul_f64 v[80:81], v[54:55], v[22:23]
	v_mul_f64 v[54:55], v[54:55], v[20:21]
	v_fma_f64 v[24:25], v[60:61], v[24:25], v[88:89]
	v_fma_f64 v[26:27], v[60:61], v[26:27], -v[46:47]
	v_fma_f64 v[12:13], v[64:65], v[12:13], v[50:51]
	v_fma_f64 v[14:15], v[64:65], v[14:15], -v[62:63]
	;; [unrolled: 2-line block ×4, first 2 shown]
	v_add_f64 v[46:47], v[4:5], -v[48:49]
	v_add_f64 v[44:45], v[6:7], -v[44:45]
	;; [unrolled: 1-line block ×8, first 2 shown]
	v_fma_f64 v[20:21], v[4:5], 2.0, -v[46:47]
	v_fma_f64 v[22:23], v[6:7], 2.0, -v[44:45]
	;; [unrolled: 1-line block ×8, first 2 shown]
	v_add_f64 v[8:9], v[46:47], v[26:27]
	v_add_f64 v[10:11], v[44:45], -v[24:25]
	v_add_f64 v[4:5], v[20:21], -v[4:5]
	;; [unrolled: 1-line block ×3, first 2 shown]
	v_add_f64 v[16:17], v[48:49], v[16:17]
	v_add_f64 v[18:19], v[50:51], -v[18:19]
	v_add_f64 v[12:13], v[28:29], -v[12:13]
	;; [unrolled: 1-line block ×3, first 2 shown]
	v_fma_f64 v[24:25], v[46:47], 2.0, -v[8:9]
	v_fma_f64 v[26:27], v[44:45], 2.0, -v[10:11]
	;; [unrolled: 1-line block ×8, first 2 shown]
	ds_write_b128 v255, v[20:23]
	ds_write_b128 v255, v[24:27] offset:1584
	ds_write_b128 v255, v[4:7] offset:3168
	;; [unrolled: 1-line block ×7, first 2 shown]
	s_and_saveexec_b64 s[4:5], s[2:3]
	s_cbranch_execz .LBB0_21
; %bb.20:
	v_mul_f64 v[4:5], v[38:39], v[76:77]
	v_mul_f64 v[6:7], v[42:43], v[74:75]
	;; [unrolled: 1-line block ×6, first 2 shown]
	v_fma_f64 v[4:5], v[36:37], v[78:79], -v[4:5]
	v_fma_f64 v[6:7], v[40:41], v[72:73], v[6:7]
	v_fma_f64 v[8:9], v[40:41], v[74:75], -v[8:9]
	v_fma_f64 v[10:11], v[32:33], v[70:71], -v[10:11]
	v_fma_f64 v[12:13], v[36:37], v[76:77], v[12:13]
	v_fma_f64 v[14:15], v[32:33], v[68:69], v[14:15]
	v_add_f64 v[16:17], v[2:3], -v[4:5]
	v_add_f64 v[4:5], v[8:9], -v[10:11]
	;; [unrolled: 1-line block ×4, first 2 shown]
	v_fma_f64 v[14:15], v[2:3], 2.0, -v[16:17]
	v_fma_f64 v[8:9], v[8:9], 2.0, -v[4:5]
	;; [unrolled: 1-line block ×4, first 2 shown]
	v_add_f64 v[2:3], v[16:17], -v[10:11]
	v_add_f64 v[0:1], v[12:13], v[4:5]
	v_add_f64 v[6:7], v[14:15], -v[8:9]
	v_add_f64 v[4:5], v[18:19], -v[20:21]
	v_fma_f64 v[10:11], v[16:17], 2.0, -v[2:3]
	v_fma_f64 v[8:9], v[12:13], 2.0, -v[0:1]
	v_fma_f64 v[14:15], v[14:15], 2.0, -v[6:7]
	v_fma_f64 v[12:13], v[18:19], 2.0, -v[4:5]
	ds_write_b128 v255, v[8:11] offset:2992
	ds_write_b128 v255, v[4:7] offset:4576
	;; [unrolled: 1-line block ×4, first 2 shown]
.LBB0_21:
	s_or_b64 exec, exec, s[4:5]
	s_waitcnt lgkmcnt(0)
	; wave barrier
	s_waitcnt lgkmcnt(0)
	s_and_b64 exec, exec, s[0:1]
	s_cbranch_execz .LBB0_23
; %bb.22:
	global_load_dwordx4 v[0:3], v255, s[12:13]
	global_load_dwordx4 v[4:7], v255, s[12:13] offset:576
	global_load_dwordx4 v[8:11], v255, s[12:13] offset:1152
	;; [unrolled: 1-line block ×4, first 2 shown]
	ds_read_b128 v[20:23], v255
	ds_read_b128 v[24:27], v255 offset:576
	ds_read_b128 v[28:31], v255 offset:1152
	;; [unrolled: 1-line block ×3, first 2 shown]
	global_load_dwordx4 v[36:39], v255, s[12:13] offset:2880
	ds_read_b128 v[40:43], v255 offset:2304
	ds_read_b128 v[44:47], v255 offset:2880
	global_load_dwordx4 v[48:51], v255, s[12:13] offset:3456
	global_load_dwordx4 v[52:55], v255, s[12:13] offset:4032
	v_mad_u64_u32 v[72:73], s[0:1], s10, v235, 0
	v_mad_u64_u32 v[74:75], s[2:3], s8, v195, 0
	v_mov_b32_e32 v60, s13
	v_add_co_u32_e32 v61, vcc, s12, v255
	s_movk_i32 s5, 0x1000
	v_addc_co_u32_e32 v60, vcc, 0, v60, vcc
	v_add_co_u32_e32 v76, vcc, s5, v61
	s_mul_i32 s3, s9, 0x240
	s_mul_hi_u32 s4, s8, 0x240
	v_addc_co_u32_e32 v77, vcc, 0, v60, vcc
	v_mov_b32_e32 v60, v73
	v_mov_b32_e32 v61, v75
	s_add_i32 s3, s4, s3
	v_mad_u64_u32 v[78:79], s[4:5], s11, v235, v[60:61]
	ds_read_b128 v[56:59], v255 offset:5760
	v_mad_u64_u32 v[79:80], s[4:5], s9, v195, v[61:62]
	global_load_dwordx4 v[60:63], v[76:77], off offset:512
	global_load_dwordx4 v[64:67], v[76:77], off offset:1088
	;; [unrolled: 1-line block ×3, first 2 shown]
	v_mov_b32_e32 v73, v78
	v_lshlrev_b64 v[72:73], 4, v[72:73]
	v_mov_b32_e32 v75, v79
	v_mov_b32_e32 v81, s7
	v_lshlrev_b64 v[74:75], 4, v[74:75]
	v_add_co_u32_e32 v72, vcc, s6, v72
	v_addc_co_u32_e32 v73, vcc, v81, v73, vcc
	v_add_co_u32_e32 v72, vcc, v72, v74
	s_mul_i32 s2, s8, 0x240
	v_addc_co_u32_e32 v73, vcc, v73, v75, vcc
	v_mov_b32_e32 v82, s3
	v_add_co_u32_e32 v74, vcc, s2, v72
	v_addc_co_u32_e32 v75, vcc, v73, v82, vcc
	v_mov_b32_e32 v83, s3
	v_add_co_u32_e32 v76, vcc, s2, v74
	;; [unrolled: 3-line block ×3, first 2 shown]
	v_addc_co_u32_e32 v79, vcc, v77, v84, vcc
	s_mov_b32 s0, 0xa052bf5b
	s_mov_b32 s1, 0x3f64afd6
	s_waitcnt vmcnt(10) lgkmcnt(6)
	v_mul_f64 v[80:81], v[22:23], v[2:3]
	v_mul_f64 v[2:3], v[20:21], v[2:3]
	s_waitcnt vmcnt(9) lgkmcnt(5)
	v_mul_f64 v[82:83], v[26:27], v[6:7]
	v_mul_f64 v[6:7], v[24:25], v[6:7]
	;; [unrolled: 3-line block ×4, first 2 shown]
	v_fma_f64 v[20:21], v[20:21], v[0:1], v[80:81]
	v_fma_f64 v[2:3], v[0:1], v[22:23], -v[2:3]
	v_fma_f64 v[22:23], v[24:25], v[4:5], v[82:83]
	v_fma_f64 v[6:7], v[4:5], v[26:27], -v[6:7]
	;; [unrolled: 2-line block ×4, first 2 shown]
	s_waitcnt vmcnt(6) lgkmcnt(2)
	v_mul_f64 v[88:89], v[42:43], v[18:19]
	v_mul_f64 v[18:19], v[40:41], v[18:19]
	;; [unrolled: 1-line block ×10, first 2 shown]
	v_fma_f64 v[20:21], v[40:41], v[16:17], v[88:89]
	v_fma_f64 v[16:17], v[16:17], v[42:43], -v[18:19]
	s_waitcnt vmcnt(5) lgkmcnt(1)
	v_mul_f64 v[18:19], v[46:47], v[38:39]
	v_mul_f64 v[22:23], v[44:45], v[38:39]
	global_store_dwordx4 v[72:73], v[0:3], off
	global_store_dwordx4 v[74:75], v[4:7], off
	;; [unrolled: 1-line block ×4, first 2 shown]
	ds_read_b128 v[4:7], v255 offset:3456
	ds_read_b128 v[8:11], v255 offset:4032
	v_mul_f64 v[0:1], v[20:21], s[0:1]
	v_mul_f64 v[2:3], v[16:17], s[0:1]
	v_fma_f64 v[12:13], v[44:45], v[36:37], v[18:19]
	v_fma_f64 v[14:15], v[36:37], v[46:47], -v[22:23]
	s_waitcnt vmcnt(8) lgkmcnt(1)
	v_mul_f64 v[16:17], v[6:7], v[50:51]
	v_mul_f64 v[18:19], v[4:5], v[50:51]
	v_mov_b32_e32 v21, s3
	v_add_co_u32_e32 v20, vcc, s2, v78
	v_addc_co_u32_e32 v21, vcc, v79, v21, vcc
	global_store_dwordx4 v[20:21], v[0:3], off
	v_fma_f64 v[4:5], v[4:5], v[48:49], v[16:17]
	v_mul_f64 v[0:1], v[12:13], s[0:1]
	v_mul_f64 v[2:3], v[14:15], s[0:1]
	v_fma_f64 v[6:7], v[48:49], v[6:7], -v[18:19]
	s_waitcnt vmcnt(8) lgkmcnt(0)
	v_mul_f64 v[12:13], v[10:11], v[54:55]
	v_mul_f64 v[14:15], v[8:9], v[54:55]
	v_mov_b32_e32 v22, s3
	v_add_co_u32_e32 v16, vcc, s2, v20
	v_addc_co_u32_e32 v17, vcc, v21, v22, vcc
	global_store_dwordx4 v[16:17], v[0:3], off
	v_fma_f64 v[12:13], v[8:9], v[52:53], v[12:13]
	v_mul_f64 v[0:1], v[4:5], s[0:1]
	v_mul_f64 v[2:3], v[6:7], s[0:1]
	ds_read_b128 v[4:7], v255 offset:4608
	v_fma_f64 v[14:15], v[52:53], v[10:11], -v[14:15]
	ds_read_b128 v[8:11], v255 offset:5184
	v_add_co_u32_e32 v16, vcc, s2, v16
	s_waitcnt vmcnt(8) lgkmcnt(1)
	v_mul_f64 v[18:19], v[6:7], v[62:63]
	v_mul_f64 v[20:21], v[4:5], v[62:63]
	v_addc_co_u32_e32 v17, vcc, v17, v22, vcc
	global_store_dwordx4 v[16:17], v[0:3], off
	v_fma_f64 v[4:5], v[4:5], v[60:61], v[18:19]
	v_mul_f64 v[0:1], v[12:13], s[0:1]
	v_mov_b32_e32 v13, s3
	v_add_co_u32_e32 v12, vcc, s2, v16
	v_mul_f64 v[2:3], v[14:15], s[0:1]
	v_fma_f64 v[6:7], v[60:61], v[6:7], -v[20:21]
	v_addc_co_u32_e32 v13, vcc, v17, v13, vcc
	s_waitcnt vmcnt(8) lgkmcnt(0)
	v_mul_f64 v[14:15], v[10:11], v[66:67]
	v_mul_f64 v[16:17], v[8:9], v[66:67]
	s_waitcnt vmcnt(7)
	v_mul_f64 v[18:19], v[58:59], v[70:71]
	v_mul_f64 v[20:21], v[56:57], v[70:71]
	global_store_dwordx4 v[12:13], v[0:3], off
	v_add_co_u32_e32 v12, vcc, s2, v12
	v_mul_f64 v[0:1], v[4:5], s[0:1]
	v_mul_f64 v[2:3], v[6:7], s[0:1]
	v_fma_f64 v[4:5], v[8:9], v[64:65], v[14:15]
	v_fma_f64 v[6:7], v[64:65], v[10:11], -v[16:17]
	v_fma_f64 v[8:9], v[56:57], v[68:69], v[18:19]
	v_fma_f64 v[10:11], v[68:69], v[58:59], -v[20:21]
	v_addc_co_u32_e32 v13, vcc, v13, v22, vcc
	v_mov_b32_e32 v14, s3
	global_store_dwordx4 v[12:13], v[0:3], off
	s_nop 0
	v_mul_f64 v[0:1], v[4:5], s[0:1]
	v_mul_f64 v[2:3], v[6:7], s[0:1]
	;; [unrolled: 1-line block ×4, first 2 shown]
	v_add_co_u32_e32 v8, vcc, s2, v12
	v_addc_co_u32_e32 v9, vcc, v13, v14, vcc
	global_store_dwordx4 v[8:9], v[0:3], off
	s_nop 0
	v_mov_b32_e32 v1, s3
	v_add_co_u32_e32 v0, vcc, s2, v8
	v_addc_co_u32_e32 v1, vcc, v9, v1, vcc
	global_store_dwordx4 v[0:1], v[4:7], off
.LBB0_23:
	s_endpgm
	.section	.rodata,"a",@progbits
	.p2align	6, 0x0
	.amdhsa_kernel bluestein_single_fwd_len396_dim1_dp_op_CI_CI
		.amdhsa_group_segment_fixed_size 6336
		.amdhsa_private_segment_fixed_size 132
		.amdhsa_kernarg_size 104
		.amdhsa_user_sgpr_count 6
		.amdhsa_user_sgpr_private_segment_buffer 1
		.amdhsa_user_sgpr_dispatch_ptr 0
		.amdhsa_user_sgpr_queue_ptr 0
		.amdhsa_user_sgpr_kernarg_segment_ptr 1
		.amdhsa_user_sgpr_dispatch_id 0
		.amdhsa_user_sgpr_flat_scratch_init 0
		.amdhsa_user_sgpr_private_segment_size 0
		.amdhsa_uses_dynamic_stack 0
		.amdhsa_system_sgpr_private_segment_wavefront_offset 1
		.amdhsa_system_sgpr_workgroup_id_x 1
		.amdhsa_system_sgpr_workgroup_id_y 0
		.amdhsa_system_sgpr_workgroup_id_z 0
		.amdhsa_system_sgpr_workgroup_info 0
		.amdhsa_system_vgpr_workitem_id 0
		.amdhsa_next_free_vgpr 256
		.amdhsa_next_free_sgpr 48
		.amdhsa_reserve_vcc 1
		.amdhsa_reserve_flat_scratch 0
		.amdhsa_float_round_mode_32 0
		.amdhsa_float_round_mode_16_64 0
		.amdhsa_float_denorm_mode_32 3
		.amdhsa_float_denorm_mode_16_64 3
		.amdhsa_dx10_clamp 1
		.amdhsa_ieee_mode 1
		.amdhsa_fp16_overflow 0
		.amdhsa_exception_fp_ieee_invalid_op 0
		.amdhsa_exception_fp_denorm_src 0
		.amdhsa_exception_fp_ieee_div_zero 0
		.amdhsa_exception_fp_ieee_overflow 0
		.amdhsa_exception_fp_ieee_underflow 0
		.amdhsa_exception_fp_ieee_inexact 0
		.amdhsa_exception_int_div_zero 0
	.end_amdhsa_kernel
	.text
.Lfunc_end0:
	.size	bluestein_single_fwd_len396_dim1_dp_op_CI_CI, .Lfunc_end0-bluestein_single_fwd_len396_dim1_dp_op_CI_CI
                                        ; -- End function
	.section	.AMDGPU.csdata,"",@progbits
; Kernel info:
; codeLenInByte = 14288
; NumSgprs: 52
; NumVgprs: 256
; ScratchSize: 132
; MemoryBound: 0
; FloatMode: 240
; IeeeMode: 1
; LDSByteSize: 6336 bytes/workgroup (compile time only)
; SGPRBlocks: 6
; VGPRBlocks: 63
; NumSGPRsForWavesPerEU: 52
; NumVGPRsForWavesPerEU: 256
; Occupancy: 1
; WaveLimiterHint : 1
; COMPUTE_PGM_RSRC2:SCRATCH_EN: 1
; COMPUTE_PGM_RSRC2:USER_SGPR: 6
; COMPUTE_PGM_RSRC2:TRAP_HANDLER: 0
; COMPUTE_PGM_RSRC2:TGID_X_EN: 1
; COMPUTE_PGM_RSRC2:TGID_Y_EN: 0
; COMPUTE_PGM_RSRC2:TGID_Z_EN: 0
; COMPUTE_PGM_RSRC2:TIDIG_COMP_CNT: 0
	.type	__hip_cuid_3c0b96f603a79826,@object ; @__hip_cuid_3c0b96f603a79826
	.section	.bss,"aw",@nobits
	.globl	__hip_cuid_3c0b96f603a79826
__hip_cuid_3c0b96f603a79826:
	.byte	0                               ; 0x0
	.size	__hip_cuid_3c0b96f603a79826, 1

	.ident	"AMD clang version 19.0.0git (https://github.com/RadeonOpenCompute/llvm-project roc-6.4.0 25133 c7fe45cf4b819c5991fe208aaa96edf142730f1d)"
	.section	".note.GNU-stack","",@progbits
	.addrsig
	.addrsig_sym __hip_cuid_3c0b96f603a79826
	.amdgpu_metadata
---
amdhsa.kernels:
  - .args:
      - .actual_access:  read_only
        .address_space:  global
        .offset:         0
        .size:           8
        .value_kind:     global_buffer
      - .actual_access:  read_only
        .address_space:  global
        .offset:         8
        .size:           8
        .value_kind:     global_buffer
      - .actual_access:  read_only
        .address_space:  global
        .offset:         16
        .size:           8
        .value_kind:     global_buffer
      - .actual_access:  read_only
        .address_space:  global
        .offset:         24
        .size:           8
        .value_kind:     global_buffer
      - .actual_access:  read_only
        .address_space:  global
        .offset:         32
        .size:           8
        .value_kind:     global_buffer
      - .offset:         40
        .size:           8
        .value_kind:     by_value
      - .address_space:  global
        .offset:         48
        .size:           8
        .value_kind:     global_buffer
      - .address_space:  global
        .offset:         56
        .size:           8
        .value_kind:     global_buffer
      - .address_space:  global
        .offset:         64
        .size:           8
        .value_kind:     global_buffer
      - .address_space:  global
        .offset:         72
        .size:           8
        .value_kind:     global_buffer
      - .offset:         80
        .size:           4
        .value_kind:     by_value
      - .address_space:  global
        .offset:         88
        .size:           8
        .value_kind:     global_buffer
      - .address_space:  global
        .offset:         96
        .size:           8
        .value_kind:     global_buffer
    .group_segment_fixed_size: 6336
    .kernarg_segment_align: 8
    .kernarg_segment_size: 104
    .language:       OpenCL C
    .language_version:
      - 2
      - 0
    .max_flat_workgroup_size: 44
    .name:           bluestein_single_fwd_len396_dim1_dp_op_CI_CI
    .private_segment_fixed_size: 132
    .sgpr_count:     52
    .sgpr_spill_count: 0
    .symbol:         bluestein_single_fwd_len396_dim1_dp_op_CI_CI.kd
    .uniform_work_group_size: 1
    .uses_dynamic_stack: false
    .vgpr_count:     256
    .vgpr_spill_count: 32
    .wavefront_size: 64
amdhsa.target:   amdgcn-amd-amdhsa--gfx906
amdhsa.version:
  - 1
  - 2
...

	.end_amdgpu_metadata
